;; amdgpu-corpus repo=ROCm/rocFFT kind=compiled arch=gfx1030 opt=O3
	.text
	.amdgcn_target "amdgcn-amd-amdhsa--gfx1030"
	.amdhsa_code_object_version 6
	.protected	bluestein_single_fwd_len91_dim1_dp_op_CI_CI ; -- Begin function bluestein_single_fwd_len91_dim1_dp_op_CI_CI
	.globl	bluestein_single_fwd_len91_dim1_dp_op_CI_CI
	.p2align	8
	.type	bluestein_single_fwd_len91_dim1_dp_op_CI_CI,@function
bluestein_single_fwd_len91_dim1_dp_op_CI_CI: ; @bluestein_single_fwd_len91_dim1_dp_op_CI_CI
; %bb.0:
	s_load_dwordx4 s[8:11], s[4:5], 0x28
	v_mul_u32_u24_e32 v1, 0x13b2, v0
	s_mov_b64 s[46:47], s[2:3]
	s_mov_b64 s[44:45], s[0:1]
	s_mov_b32 s0, exec_lo
	s_add_u32 s44, s44, s7
	v_lshrrev_b32_e32 v1, 16, v1
	s_addc_u32 s45, s45, 0
	v_mad_u64_u32 v[128:129], null, s6, 19, v[1:2]
	v_mov_b32_e32 v129, 0
	s_waitcnt lgkmcnt(0)
	v_cmpx_gt_u64_e64 s[8:9], v[128:129]
	s_cbranch_execz .LBB0_10
; %bb.1:
	s_clause 0x1
	s_load_dwordx4 s[0:3], s[4:5], 0x18
	s_load_dwordx4 s[12:15], s[4:5], 0x0
	v_mul_lo_u16 v1, v1, 13
	v_mul_hi_u32 v57, 0xaf286bcb, v128
                                        ; implicit-def: $vgpr88_vgpr89
	v_sub_nc_u16 v28, v0, v1
	v_sub_nc_u32_e32 v58, v128, v57
	v_and_b32_e32 v98, 0xffff, v28
	v_lshrrev_b32_e32 v58, 1, v58
	v_lshlrev_b32_e32 v199, 4, v98
	s_waitcnt lgkmcnt(0)
	s_load_dwordx4 s[16:19], s[0:1], 0x0
	v_add_nc_u32_e32 v57, v58, v57
	v_lshrrev_b32_e32 v57, 4, v57
	v_mul_lo_u32 v85, v57, 19
	v_sub_nc_u32_e32 v85, v128, v85
	s_waitcnt lgkmcnt(0)
	v_mad_u64_u32 v[0:1], null, s18, v128, 0
	v_mad_u64_u32 v[2:3], null, s16, v98, 0
	s_mul_i32 s0, s17, 0xd0
	s_mul_hi_u32 s1, s16, 0xd0
	s_mul_i32 s6, s16, 0xd0
	s_add_i32 s1, s1, s0
	s_mov_b32 s16, 0x5476071b
	s_mov_b32 s18, 0xb247c609
	v_mad_u64_u32 v[4:5], null, s19, v128, v[1:2]
	s_mov_b32 s19, 0x3fd5d0dc
	v_mad_u64_u32 v[5:6], null, s17, v98, v[3:4]
	v_mov_b32_e32 v1, v4
	s_mov_b32 s17, 0x3fe77f67
	v_lshlrev_b64 v[0:1], 4, v[0:1]
	v_mov_b32_e32 v3, v5
	v_add_co_u32 v0, vcc_lo, s10, v0
	v_lshlrev_b64 v[2:3], 4, v[2:3]
	v_add_co_ci_u32_e32 v1, vcc_lo, s11, v1, vcc_lo
	v_add_co_u32 v16, vcc_lo, v0, v2
	v_add_co_ci_u32_e32 v17, vcc_lo, v1, v3, vcc_lo
	s_clause 0x1
	global_load_dwordx4 v[0:3], v199, s[12:13]
	global_load_dwordx4 v[4:7], v199, s[12:13] offset:208
	v_add_co_u32 v18, vcc_lo, v16, s6
	v_add_co_ci_u32_e32 v19, vcc_lo, s1, v17, vcc_lo
	s_clause 0x1
	global_load_dwordx4 v[8:11], v199, s[12:13] offset:416
	global_load_dwordx4 v[12:15], v199, s[12:13] offset:624
	v_add_co_u32 v20, vcc_lo, v18, s6
	v_add_co_ci_u32_e32 v21, vcc_lo, s1, v19, vcc_lo
	global_load_dwordx4 v[29:32], v[16:17], off
	v_add_co_u32 v22, vcc_lo, v20, s6
	v_add_co_ci_u32_e32 v23, vcc_lo, s1, v21, vcc_lo
	s_clause 0x1
	global_load_dwordx4 v[33:36], v[18:19], off
	global_load_dwordx4 v[37:40], v[20:21], off
	v_add_co_u32 v16, vcc_lo, v22, s6
	v_add_co_ci_u32_e32 v17, vcc_lo, s1, v23, vcc_lo
	s_clause 0x1
	global_load_dwordx4 v[41:44], v[22:23], off
	global_load_dwordx4 v[45:48], v[16:17], off
	v_add_co_u32 v20, vcc_lo, v16, s6
	v_add_co_ci_u32_e32 v21, vcc_lo, s1, v17, vcc_lo
	v_add_co_u32 v53, vcc_lo, v20, s6
	v_add_co_ci_u32_e32 v54, vcc_lo, s1, v21, vcc_lo
	s_clause 0x1
	global_load_dwordx4 v[24:27], v199, s[12:13] offset:832
	global_load_dwordx4 v[16:19], v199, s[12:13] offset:1040
	global_load_dwordx4 v[49:52], v[20:21], off
	global_load_dwordx4 v[20:23], v199, s[12:13] offset:1248
	global_load_dwordx4 v[53:56], v[53:54], off
	s_load_dwordx4 s[8:11], s[2:3], 0x0
	s_mov_b32 s0, 0x37e14327
	s_mov_b32 s1, 0x3fe948f6
	;; [unrolled: 1-line block ×6, first 2 shown]
	v_cmp_gt_u16_e32 vcc_lo, 7, v28
	s_waitcnt vmcnt(9)
	v_mul_f64 v[57:58], v[31:32], v[2:3]
	v_mul_f64 v[59:60], v[29:30], v[2:3]
	s_waitcnt vmcnt(8)
	v_mul_f64 v[61:62], v[35:36], v[6:7]
	v_mul_f64 v[63:64], v[33:34], v[6:7]
	;; [unrolled: 3-line block ×7, first 2 shown]
	v_fma_f64 v[29:30], v[29:30], v[0:1], v[57:58]
	v_fma_f64 v[31:32], v[31:32], v[0:1], -v[59:60]
	v_fma_f64 v[33:34], v[33:34], v[4:5], v[61:62]
	v_fma_f64 v[35:36], v[35:36], v[4:5], -v[63:64]
	;; [unrolled: 2-line block ×3, first 2 shown]
	v_mul_u32_u24_e32 v57, 0x5b, v85
	v_fma_f64 v[41:42], v[41:42], v[12:13], v[69:70]
	v_fma_f64 v[43:44], v[43:44], v[12:13], -v[71:72]
	v_fma_f64 v[45:46], v[45:46], v[24:25], v[73:74]
	v_fma_f64 v[47:48], v[47:48], v[24:25], -v[75:76]
	;; [unrolled: 2-line block ×4, first 2 shown]
	v_lshlrev_b32_e32 v77, 4, v57
                                        ; implicit-def: $vgpr80_vgpr81
	v_add_nc_u32_e32 v255, v199, v77
	ds_write_b128 v255, v[29:32]
	ds_write_b128 v255, v[33:36] offset:208
	ds_write_b128 v255, v[37:40] offset:416
	;; [unrolled: 1-line block ×6, first 2 shown]
	s_waitcnt lgkmcnt(0)
	s_barrier
	buffer_gl0_inv
	ds_read_b128 v[29:32], v255 offset:208
	ds_read_b128 v[33:36], v255 offset:1248
	;; [unrolled: 1-line block ×6, first 2 shown]
	buffer_store_dword v77, off, s[44:47], 0 offset:4 ; 4-byte Folded Spill
	s_waitcnt lgkmcnt(4)
	v_add_f64 v[53:54], v[29:30], v[33:34]
	v_add_f64 v[55:56], v[31:32], v[35:36]
	s_waitcnt lgkmcnt(2)
	v_add_f64 v[57:58], v[41:42], v[37:38]
	v_add_f64 v[59:60], v[43:44], v[39:40]
	;; [unrolled: 3-line block ×3, first 2 shown]
	v_add_f64 v[37:38], v[41:42], -v[37:38]
	v_add_f64 v[39:40], v[43:44], -v[39:40]
	;; [unrolled: 1-line block ×6, first 2 shown]
	ds_read_b128 v[29:32], v255
	s_waitcnt lgkmcnt(0)
	s_waitcnt_vscnt null, 0x0
	s_barrier
	buffer_gl0_inv
	v_add_f64 v[45:46], v[57:58], v[53:54]
	v_add_f64 v[47:48], v[59:60], v[55:56]
	v_add_f64 v[49:50], v[53:54], -v[61:62]
	v_add_f64 v[51:52], v[55:56], -v[63:64]
	v_add_f64 v[65:66], v[61:62], -v[57:58]
	v_add_f64 v[67:68], v[63:64], -v[59:60]
	v_add_f64 v[69:70], v[41:42], -v[37:38]
	v_add_f64 v[71:72], v[43:44], -v[39:40]
	v_add_f64 v[73:74], v[37:38], -v[33:34]
	v_add_f64 v[75:76], v[39:40], -v[35:36]
	v_add_f64 v[53:54], v[57:58], -v[53:54]
	v_add_f64 v[55:56], v[59:60], -v[55:56]
	v_add_f64 v[37:38], v[41:42], v[37:38]
	v_add_f64 v[39:40], v[43:44], v[39:40]
	v_add_f64 v[41:42], v[33:34], -v[41:42]
	v_add_f64 v[43:44], v[35:36], -v[43:44]
	v_add_f64 v[45:46], v[61:62], v[45:46]
	v_add_f64 v[47:48], v[63:64], v[47:48]
	v_mul_f64 v[49:50], v[49:50], s[0:1]
	v_mul_f64 v[51:52], v[51:52], s[0:1]
	s_mov_b32 s0, 0x429ad128
	v_mul_f64 v[57:58], v[65:66], s[2:3]
	v_mul_f64 v[59:60], v[67:68], s[2:3]
	;; [unrolled: 1-line block ×4, first 2 shown]
	s_mov_b32 s1, 0x3febfeb5
	s_mov_b32 s6, 0xaaaaaaaa
	v_mul_f64 v[69:70], v[73:74], s[0:1]
	v_mul_f64 v[71:72], v[75:76], s[0:1]
	s_mov_b32 s7, 0xbff2aaaa
	v_add_f64 v[100:101], v[29:30], v[45:46]
	v_add_f64 v[102:103], v[31:32], v[47:48]
	;; [unrolled: 1-line block ×4, first 2 shown]
	v_fma_f64 v[33:34], v[65:66], s[2:3], v[49:50]
	v_fma_f64 v[37:38], v[53:54], s[16:17], -v[57:58]
	v_fma_f64 v[39:40], v[55:56], s[16:17], -v[59:60]
	s_mov_b32 s17, 0xbfe77f67
	v_fma_f64 v[57:58], v[41:42], s[18:19], v[61:62]
	v_fma_f64 v[59:60], v[43:44], s[18:19], v[63:64]
	s_mov_b32 s19, 0xbfd5d0dc
	v_fma_f64 v[35:36], v[67:68], s[2:3], v[51:52]
	v_fma_f64 v[61:62], v[73:74], s[0:1], -v[61:62]
	v_fma_f64 v[63:64], v[75:76], s[0:1], -v[63:64]
	;; [unrolled: 1-line block ×6, first 2 shown]
	s_mov_b32 s0, 0x37c3f68c
	s_mov_b32 s1, 0x3fdc38aa
	s_load_dwordx2 s[2:3], s[4:5], 0x38
                                        ; implicit-def: $vgpr72_vgpr73
	v_fma_f64 v[45:46], v[45:46], s[6:7], v[100:101]
	v_fma_f64 v[47:48], v[47:48], s[6:7], v[102:103]
	v_fma_f64 v[53:54], v[29:30], s[0:1], v[57:58]
	v_fma_f64 v[55:56], v[31:32], s[0:1], v[59:60]
	v_fma_f64 v[57:58], v[29:30], s[0:1], v[61:62]
	v_fma_f64 v[59:60], v[31:32], s[0:1], v[63:64]
	v_fma_f64 v[29:30], v[29:30], s[0:1], v[41:42]
	v_fma_f64 v[61:62], v[31:32], s[0:1], v[43:44]
	v_mul_lo_u16 v31, v28, 7
	v_add_co_u32 v104, s0, s12, v199
	v_add_co_ci_u32_e64 v105, null, s13, 0, s0
	v_add_f64 v[63:64], v[33:34], v[45:46]
	v_add_f64 v[65:66], v[35:36], v[47:48]
	v_add_f64 v[49:50], v[49:50], v[45:46]
	v_add_f64 v[51:52], v[51:52], v[47:48]
	v_add_f64 v[41:42], v[37:38], v[45:46]
	v_add_f64 v[67:68], v[39:40], v[47:48]
	v_add_f64 v[44:45], v[63:64], v[55:56]
	v_add_f64 v[46:47], v[65:66], -v[53:54]
	v_add_f64 v[32:33], v[49:50], v[61:62]
	v_add_f64 v[34:35], v[51:52], -v[29:30]
	v_add_f64 v[36:37], v[41:42], -v[59:60]
	v_add_f64 v[38:39], v[57:58], v[67:68]
	v_add_f64 v[40:41], v[41:42], v[59:60]
	v_add_f64 v[42:43], v[67:68], -v[57:58]
	v_add_f64 v[48:49], v[49:50], -v[61:62]
	v_add_f64 v[50:51], v[29:30], v[51:52]
	v_add_f64 v[84:85], v[63:64], -v[55:56]
	v_add_f64 v[86:87], v[53:54], v[65:66]
	v_and_b32_e32 v29, 0xffff, v31
                                        ; implicit-def: $vgpr64_vgpr65
                                        ; implicit-def: $vgpr56_vgpr57
	v_lshl_add_u32 v200, v29, 4, v77
	ds_write_b128 v200, v[100:103]
	ds_write_b128 v200, v[44:47] offset:16
	ds_write_b128 v200, v[32:35] offset:32
	;; [unrolled: 1-line block ×6, first 2 shown]
	s_waitcnt lgkmcnt(0)
	s_barrier
	buffer_gl0_inv
                                        ; implicit-def: $vgpr76_vgpr77
	s_and_saveexec_b32 s0, vcc_lo
	s_cbranch_execz .LBB0_3
; %bb.2:
	ds_read_b128 v[100:103], v255
	ds_read_b128 v[44:47], v255 offset:112
	ds_read_b128 v[32:35], v255 offset:224
	;; [unrolled: 1-line block ×12, first 2 shown]
.LBB0_3:
	s_or_b32 exec_lo, exec_lo, s0
	v_add_nc_u32_e32 v28, -7, v98
	s_mov_b32 s22, 0x42a4c3d2
	s_mov_b32 s23, 0xbfea55e2
	s_mov_b32 s21, 0xbfddbe06
	s_mov_b32 s20, 0x4267c47c
	v_cndmask_b32_e32 v28, v28, v98, vcc_lo
	s_mov_b32 s4, 0xe00740e9
	s_mov_b32 s5, 0x3fec55a7
	;; [unrolled: 1-line block ×4, first 2 shown]
	v_mul_hi_i32_i24_e32 v29, 12, v28
	v_mul_i32_i24_e32 v28, 12, v28
	s_mov_b32 s6, 0xebaa3ed8
	s_mov_b32 s7, 0x3fbedb7d
	;; [unrolled: 1-line block ×4, first 2 shown]
	v_lshlrev_b64 v[28:29], 4, v[28:29]
	s_mov_b32 s28, 0x24c2f84
	s_mov_b32 s29, 0xbfe5384d
	;; [unrolled: 1-line block ×5, first 2 shown]
	v_add_co_u32 v92, s0, s14, v28
	v_add_co_ci_u32_e64 v93, s0, s15, v29, s0
	s_mov_b32 s0, 0x1ea71119
	s_mov_b32 s1, 0x3fe22d96
	s_clause 0x2
	global_load_dwordx4 v[28:31], v[92:93], off
	global_load_dwordx4 v[52:55], v[92:93], off offset:16
	global_load_dwordx4 v[60:63], v[92:93], off offset:176
	s_mov_b32 s14, 0xb2365da1
	s_mov_b32 s15, 0xbfd6b1d8
	;; [unrolled: 1-line block ×11, first 2 shown]
	s_waitcnt vmcnt(2) lgkmcnt(11)
	v_mul_f64 v[68:69], v[44:45], v[30:31]
	s_waitcnt vmcnt(1) lgkmcnt(10)
	v_mul_f64 v[94:95], v[34:35], v[54:55]
	v_mul_f64 v[96:97], v[32:33], v[54:55]
	;; [unrolled: 1-line block ×3, first 2 shown]
	v_fma_f64 v[165:166], v[46:47], v[28:29], v[68:69]
	v_fma_f64 v[124:125], v[32:33], v[52:53], -v[94:95]
	v_fma_f64 v[131:132], v[34:35], v[52:53], v[96:97]
	s_waitcnt vmcnt(0) lgkmcnt(0)
	v_mul_f64 v[32:33], v[56:57], v[62:63]
	v_mul_f64 v[34:35], v[58:59], v[62:63]
	v_fma_f64 v[163:164], v[44:45], v[28:29], -v[70:71]
	global_load_dwordx4 v[68:71], v[92:93], off offset:160
	v_fma_f64 v[96:97], v[58:59], v[60:61], v[32:33]
	v_fma_f64 v[94:95], v[56:57], v[60:61], -v[34:35]
	s_clause 0x1
	global_load_dwordx4 v[56:59], v[92:93], off offset:32
	global_load_dwordx4 v[44:47], v[92:93], off offset:48
	v_add_f64 v[110:111], v[163:164], v[94:95]
	s_waitcnt vmcnt(1)
	v_mul_f64 v[32:33], v[38:39], v[58:59]
	v_fma_f64 v[129:130], v[36:37], v[56:57], -v[32:33]
	v_mul_f64 v[32:33], v[36:37], v[58:59]
	v_fma_f64 v[133:134], v[38:39], v[56:57], v[32:33]
	s_waitcnt vmcnt(0)
	v_mul_f64 v[32:33], v[42:43], v[46:47]
	v_fma_f64 v[114:115], v[40:41], v[44:45], -v[32:33]
	v_mul_f64 v[32:33], v[40:41], v[46:47]
	v_fma_f64 v[122:123], v[42:43], v[44:45], v[32:33]
	s_clause 0x1
	global_load_dwordx4 v[40:43], v[92:93], off offset:64
	global_load_dwordx4 v[32:35], v[92:93], off offset:80
	s_waitcnt vmcnt(1)
	v_mul_f64 v[36:37], v[50:51], v[42:43]
	v_fma_f64 v[118:119], v[48:49], v[40:41], -v[36:37]
	v_mul_f64 v[36:37], v[48:49], v[42:43]
	v_fma_f64 v[126:127], v[50:51], v[40:41], v[36:37]
	s_waitcnt vmcnt(0)
	v_mul_f64 v[36:37], v[86:87], v[34:35]
	v_fma_f64 v[108:109], v[84:85], v[32:33], -v[36:37]
	v_mul_f64 v[36:37], v[84:85], v[34:35]
	v_fma_f64 v[112:113], v[86:87], v[32:33], v[36:37]
	v_mul_f64 v[36:37], v[88:89], v[70:71]
	v_fma_f64 v[106:107], v[90:91], v[68:69], v[36:37]
	v_mul_f64 v[36:37], v[90:91], v[70:71]
	v_add_f64 v[86:87], v[131:132], -v[106:107]
	v_fma_f64 v[88:89], v[88:89], v[68:69], -v[36:37]
	s_clause 0x1
	global_load_dwordx4 v[36:39], v[92:93], off offset:96
	global_load_dwordx4 v[48:51], v[92:93], off offset:112
	v_mul_f64 v[213:214], v[86:87], s[24:25]
	v_add_f64 v[151:152], v[124:125], v[88:89]
	v_mul_f64 v[235:236], v[86:87], s[30:31]
	s_waitcnt vmcnt(1)
	v_mul_f64 v[84:85], v[66:67], v[38:39]
	v_fma_f64 v[149:150], v[64:65], v[36:37], -v[84:85]
	v_mul_f64 v[64:65], v[64:65], v[38:39]
	v_add_f64 v[175:176], v[108:109], v[149:150]
	v_fma_f64 v[169:170], v[66:67], v[36:37], v[64:65]
	s_waitcnt vmcnt(0)
	v_mul_f64 v[64:65], v[74:75], v[50:51]
	v_add_f64 v[203:204], v[112:113], -v[169:170]
	v_fma_f64 v[145:146], v[72:73], v[48:49], -v[64:65]
	v_mul_f64 v[64:65], v[72:73], v[50:51]
	v_mul_f64 v[215:216], v[203:204], s[30:31]
	v_add_f64 v[167:168], v[118:119], v[145:146]
	v_fma_f64 v[147:148], v[74:75], v[48:49], v[64:65]
	s_clause 0x1
	global_load_dwordx4 v[64:67], v[92:93], off offset:128
	global_load_dwordx4 v[72:75], v[92:93], off offset:144
	v_mul_f64 v[211:212], v[203:204], s[28:29]
	v_mul_f64 v[223:224], v[203:204], s[24:25]
	v_add_f64 v[187:188], v[126:127], -v[147:148]
	v_mul_f64 v[233:234], v[187:188], s[34:35]
	v_mul_f64 v[243:244], v[187:188], s[22:23]
	s_waitcnt vmcnt(1)
	v_mul_f64 v[84:85], v[78:79], v[66:67]
	v_fma_f64 v[92:93], v[76:77], v[64:65], -v[84:85]
	v_mul_f64 v[76:77], v[76:77], v[66:67]
	v_add_f64 v[84:85], v[165:166], -v[96:97]
	v_add_f64 v[159:160], v[114:115], v[92:93]
	v_fma_f64 v[139:140], v[78:79], v[64:65], v[76:77]
	v_mul_f64 v[78:79], v[86:87], s[22:23]
	buffer_store_dword v78, off, s[44:47], 0 offset:184 ; 4-byte Folded Spill
	buffer_store_dword v79, off, s[44:47], 0 offset:188 ; 4-byte Folded Spill
	;; [unrolled: 1-line block ×10, first 2 shown]
	s_waitcnt vmcnt(0)
	v_mul_f64 v[76:77], v[82:83], v[74:75]
	buffer_store_dword v106, off, s[44:47], 0 offset:24 ; 4-byte Folded Spill
	buffer_store_dword v107, off, s[44:47], 0 offset:28 ; 4-byte Folded Spill
	;; [unrolled: 1-line block ×4, first 2 shown]
	v_mul_f64 v[173:174], v[84:85], s[20:21]
	v_add_f64 v[183:184], v[122:123], -v[139:140]
	v_mul_f64 v[191:192], v[84:85], s[28:29]
	v_mul_f64 v[195:196], v[84:85], s[30:31]
	v_fma_f64 v[90:91], v[80:81], v[72:73], -v[76:77]
	v_mul_f64 v[76:77], v[80:81], v[74:75]
	v_mul_f64 v[225:226], v[183:184], s[36:37]
	v_add_f64 v[155:156], v[129:130], v[90:91]
	v_fma_f64 v[82:83], v[82:83], v[72:73], v[76:77]
	v_fma_f64 v[76:77], v[110:111], s[4:5], v[173:174]
	v_add_f64 v[141:142], v[133:134], -v[82:83]
	v_add_f64 v[76:77], v[100:101], v[76:77]
	v_mul_f64 v[217:218], v[141:142], s[30:31]
	v_mul_f64 v[249:250], v[141:142], s[38:39]
	v_fma_f64 v[78:79], v[151:152], s[0:1], v[78:79]
	v_add_f64 v[135:136], v[163:164], -v[94:95]
	v_add_f64 v[120:121], v[165:166], v[96:97]
	v_add_f64 v[137:138], v[124:125], -v[88:89]
	v_add_f64 v[153:154], v[131:132], v[106:107]
	v_mul_f64 v[131:132], v[84:85], s[26:27]
	v_add_f64 v[76:77], v[78:79], v[76:77]
	v_mul_f64 v[116:117], v[135:136], s[20:21]
	s_mov_b32 s21, 0x3fddbe06
	v_mul_f64 v[80:81], v[137:138], s[22:23]
	buffer_store_dword v80, off, s[44:47], 0 offset:192 ; 4-byte Folded Spill
	buffer_store_dword v81, off, s[44:47], 0 offset:196 ; 4-byte Folded Spill
	v_fma_f64 v[78:79], v[120:121], s[4:5], -v[116:117]
	v_mul_f64 v[221:222], v[137:138], s[24:25]
	v_mul_f64 v[231:232], v[203:204], s[20:21]
	;; [unrolled: 1-line block ×9, first 2 shown]
	v_add_f64 v[78:79], v[102:103], v[78:79]
	v_fma_f64 v[80:81], v[153:154], s[0:1], -v[80:81]
	v_add_f64 v[78:79], v[80:81], v[78:79]
	v_mul_f64 v[80:81], v[141:142], s[26:27]
	buffer_store_dword v80, off, s[44:47], 0 offset:200 ; 4-byte Folded Spill
	buffer_store_dword v81, off, s[44:47], 0 offset:204 ; 4-byte Folded Spill
	;; [unrolled: 1-line block ×10, first 2 shown]
	v_fma_f64 v[80:81], v[155:156], s[6:7], v[80:81]
	v_add_f64 v[143:144], v[129:130], -v[90:91]
	v_add_f64 v[157:158], v[133:134], v[82:83]
	v_mul_f64 v[129:130], v[135:136], s[22:23]
	v_mul_f64 v[133:134], v[135:136], s[26:27]
	v_add_f64 v[76:77], v[80:81], v[76:77]
	v_mul_f64 v[80:81], v[143:144], s[26:27]
	buffer_store_dword v80, off, s[44:47], 0 offset:208 ; 4-byte Folded Spill
	buffer_store_dword v81, off, s[44:47], 0 offset:212 ; 4-byte Folded Spill
	v_mul_f64 v[227:228], v[143:144], s[30:31]
	v_mul_f64 v[106:107], v[143:144], s[38:39]
	;; [unrolled: 1-line block ×4, first 2 shown]
	v_fma_f64 v[80:81], v[157:158], s[6:7], -v[80:81]
	v_add_f64 v[78:79], v[80:81], v[78:79]
	v_mul_f64 v[80:81], v[183:184], s[24:25]
	buffer_store_dword v80, off, s[44:47], 0 offset:216 ; 4-byte Folded Spill
	buffer_store_dword v81, off, s[44:47], 0 offset:220 ; 4-byte Folded Spill
	buffer_store_dword v114, off, s[44:47], 0 offset:56 ; 4-byte Folded Spill
	buffer_store_dword v115, off, s[44:47], 0 offset:60 ; 4-byte Folded Spill
	buffer_store_dword v92, off, s[44:47], 0 offset:136 ; 4-byte Folded Spill
	buffer_store_dword v93, off, s[44:47], 0 offset:140 ; 4-byte Folded Spill
	buffer_store_dword v122, off, s[44:47], 0 offset:72 ; 4-byte Folded Spill
	buffer_store_dword v123, off, s[44:47], 0 offset:76 ; 4-byte Folded Spill
	buffer_store_dword v139, off, s[44:47], 0 offset:144 ; 4-byte Folded Spill
	buffer_store_dword v140, off, s[44:47], 0 offset:148 ; 4-byte Folded Spill
	v_fma_f64 v[80:81], v[159:160], s[14:15], v[80:81]
	v_add_f64 v[185:186], v[114:115], -v[92:93]
	v_add_f64 v[161:162], v[122:123], v[139:140]
	v_mul_f64 v[114:115], v[86:87], s[34:35]
	v_mul_f64 v[122:123], v[141:142], s[22:23]
	v_add_f64 v[76:77], v[80:81], v[76:77]
	v_mul_f64 v[80:81], v[185:186], s[24:25]
	buffer_store_dword v80, off, s[44:47], 0 offset:224 ; 4-byte Folded Spill
	buffer_store_dword v81, off, s[44:47], 0 offset:228 ; 4-byte Folded Spill
	v_mul_f64 v[237:238], v[185:186], s[36:37]
	v_fma_f64 v[82:83], v[151:152], s[6:7], v[114:115]
	v_fma_f64 v[80:81], v[161:162], s[14:15], -v[80:81]
	v_add_f64 v[78:79], v[80:81], v[78:79]
	v_mul_f64 v[80:81], v[187:188], s[28:29]
	buffer_store_dword v80, off, s[44:47], 0 offset:232 ; 4-byte Folded Spill
	buffer_store_dword v81, off, s[44:47], 0 offset:236 ; 4-byte Folded Spill
	;; [unrolled: 1-line block ×10, first 2 shown]
	v_fma_f64 v[80:81], v[167:168], s[16:17], v[80:81]
	v_add_f64 v[201:202], v[118:119], -v[145:146]
	v_add_f64 v[171:172], v[126:127], v[147:148]
	v_mul_f64 v[126:127], v[84:85], s[22:23]
	v_mul_f64 v[118:119], v[137:138], s[34:35]
	;; [unrolled: 1-line block ×4, first 2 shown]
	v_add_f64 v[76:77], v[80:81], v[76:77]
	v_mul_f64 v[80:81], v[201:202], s[28:29]
	buffer_store_dword v80, off, s[44:47], 0 offset:248 ; 4-byte Folded Spill
	buffer_store_dword v81, off, s[44:47], 0 offset:252 ; 4-byte Folded Spill
	buffer_store_dword v98, off, s[44:47], 0 ; 4-byte Folded Spill
	buffer_store_dword v108, off, s[44:47], 0 offset:40 ; 4-byte Folded Spill
	buffer_store_dword v109, off, s[44:47], 0 offset:44 ; 4-byte Folded Spill
	;; [unrolled: 1-line block ×8, first 2 shown]
	v_mul_f64 v[245:246], v[201:202], s[34:35]
	v_mul_f64 v[179:180], v[201:202], s[22:23]
	v_fma_f64 v[135:136], v[153:154], s[4:5], -v[147:148]
	v_fma_f64 v[80:81], v[171:172], s[16:17], -v[80:81]
	v_add_f64 v[205:206], v[108:109], -v[149:150]
	v_add_f64 v[177:178], v[112:113], v[169:170]
	v_mul_f64 v[112:113], v[185:186], s[20:21]
	v_mul_f64 v[149:150], v[84:85], s[24:25]
	v_fma_f64 v[108:109], v[153:154], s[6:7], -v[118:119]
	v_mul_f64 v[169:170], v[201:202], s[20:21]
	v_fma_f64 v[84:85], v[110:111], s[18:19], v[195:196]
	v_add_f64 v[78:79], v[80:81], v[78:79]
	v_fma_f64 v[80:81], v[175:176], s[18:19], v[215:216]
	v_mul_f64 v[229:230], v[205:206], s[30:31]
	v_mul_f64 v[247:248], v[205:206], s[20:21]
	v_mul_f64 v[219:220], v[205:206], s[28:29]
	v_mul_f64 v[239:240], v[205:206], s[24:25]
	v_add_f64 v[84:85], v[100:101], v[84:85]
	v_add_f64 v[92:93], v[80:81], v[76:77]
	v_fma_f64 v[76:77], v[177:178], s[18:19], -v[229:230]
	v_fma_f64 v[80:81], v[153:154], s[14:15], -v[221:222]
	v_add_f64 v[94:95], v[76:77], v[78:79]
	v_fma_f64 v[76:77], v[110:111], s[0:1], v[126:127]
	v_fma_f64 v[78:79], v[151:152], s[14:15], v[213:214]
	v_add_f64 v[76:77], v[100:101], v[76:77]
	v_add_f64 v[76:77], v[78:79], v[76:77]
	v_fma_f64 v[78:79], v[120:121], s[0:1], -v[129:130]
	v_add_f64 v[78:79], v[102:103], v[78:79]
	v_add_f64 v[78:79], v[80:81], v[78:79]
	v_fma_f64 v[80:81], v[155:156], s[18:19], v[217:218]
	v_add_f64 v[76:77], v[80:81], v[76:77]
	v_fma_f64 v[80:81], v[157:158], s[18:19], -v[227:228]
	v_add_f64 v[78:79], v[80:81], v[78:79]
	v_fma_f64 v[80:81], v[159:160], s[16:17], v[225:226]
	v_add_f64 v[76:77], v[80:81], v[76:77]
	v_fma_f64 v[80:81], v[161:162], s[16:17], -v[237:238]
	;; [unrolled: 4-line block ×4, first 2 shown]
	v_fma_f64 v[80:81], v[153:154], s[18:19], -v[251:252]
	v_add_f64 v[98:99], v[76:77], v[78:79]
	v_fma_f64 v[76:77], v[110:111], s[6:7], v[131:132]
	v_fma_f64 v[78:79], v[151:152], s[18:19], v[235:236]
	v_add_f64 v[76:77], v[100:101], v[76:77]
	v_add_f64 v[76:77], v[78:79], v[76:77]
	v_fma_f64 v[78:79], v[120:121], s[6:7], -v[133:134]
	v_add_f64 v[78:79], v[102:103], v[78:79]
	v_add_f64 v[78:79], v[80:81], v[78:79]
	v_fma_f64 v[80:81], v[155:156], s[14:15], v[249:250]
	v_add_f64 v[76:77], v[80:81], v[76:77]
	v_fma_f64 v[80:81], v[157:158], s[14:15], -v[106:107]
	v_add_f64 v[78:79], v[80:81], v[78:79]
	v_fma_f64 v[80:81], v[159:160], s[4:5], v[253:254]
	v_add_f64 v[76:77], v[80:81], v[76:77]
	v_fma_f64 v[80:81], v[161:162], s[4:5], -v[112:113]
	;; [unrolled: 4-line block ×4, first 2 shown]
	v_fma_f64 v[80:81], v[153:154], s[16:17], -v[209:210]
	v_add_f64 v[90:91], v[76:77], v[78:79]
	v_mul_f64 v[78:79], v[86:87], s[36:37]
	buffer_store_dword v78, off, s[44:47], 0 offset:296 ; 4-byte Folded Spill
	buffer_store_dword v79, off, s[44:47], 0 offset:300 ; 4-byte Folded Spill
	v_fma_f64 v[76:77], v[110:111], s[14:15], v[149:150]
	s_mov_b32 s37, 0x3fea55e2
	s_mov_b32 s36, s22
	v_add_f64 v[76:77], v[100:101], v[76:77]
	v_fma_f64 v[78:79], v[151:152], s[16:17], v[78:79]
	v_add_f64 v[76:77], v[78:79], v[76:77]
	v_fma_f64 v[78:79], v[120:121], s[14:15], -v[189:190]
	v_add_f64 v[78:79], v[102:103], v[78:79]
	v_add_f64 v[78:79], v[80:81], v[78:79]
	v_mul_f64 v[80:81], v[141:142], s[20:21]
	buffer_store_dword v80, off, s[44:47], 0 offset:304 ; 4-byte Folded Spill
	buffer_store_dword v81, off, s[44:47], 0 offset:308 ; 4-byte Folded Spill
	v_mul_f64 v[141:142], v[141:142], s[28:29]
	v_fma_f64 v[80:81], v[155:156], s[4:5], v[80:81]
	v_add_f64 v[76:77], v[80:81], v[76:77]
	v_fma_f64 v[80:81], v[157:158], s[4:5], -v[207:208]
	v_add_f64 v[78:79], v[80:81], v[78:79]
	v_mul_f64 v[80:81], v[183:184], s[26:27]
	buffer_store_dword v80, off, s[44:47], 0 offset:272 ; 4-byte Folded Spill
	buffer_store_dword v81, off, s[44:47], 0 offset:276 ; 4-byte Folded Spill
	v_fma_f64 v[80:81], v[159:160], s[6:7], v[80:81]
	v_add_f64 v[76:77], v[80:81], v[76:77]
	v_mul_f64 v[80:81], v[185:186], s[26:27]
	buffer_store_dword v80, off, s[44:47], 0 offset:288 ; 4-byte Folded Spill
	buffer_store_dword v81, off, s[44:47], 0 offset:292 ; 4-byte Folded Spill
	s_mov_b32 s27, 0x3fcea1e5
	s_mov_b32 s26, s30
	v_mul_f64 v[181:182], v[185:186], s[26:27]
	v_fma_f64 v[80:81], v[161:162], s[6:7], -v[80:81]
	v_add_f64 v[78:79], v[80:81], v[78:79]
	v_mul_f64 v[80:81], v[187:188], s[26:27]
	buffer_store_dword v80, off, s[44:47], 0 offset:256 ; 4-byte Folded Spill
	buffer_store_dword v81, off, s[44:47], 0 offset:260 ; 4-byte Folded Spill
	v_fma_f64 v[80:81], v[167:168], s[18:19], v[80:81]
	v_add_f64 v[76:77], v[80:81], v[76:77]
	v_mul_f64 v[80:81], v[201:202], s[26:27]
	buffer_store_dword v80, off, s[44:47], 0 offset:280 ; 4-byte Folded Spill
	buffer_store_dword v81, off, s[44:47], 0 offset:284 ; 4-byte Folded Spill
	v_fma_f64 v[80:81], v[171:172], s[18:19], -v[80:81]
	v_add_f64 v[78:79], v[80:81], v[78:79]
	v_mul_f64 v[80:81], v[203:204], s[36:37]
	buffer_store_dword v80, off, s[44:47], 0 offset:240 ; 4-byte Folded Spill
	buffer_store_dword v81, off, s[44:47], 0 offset:244 ; 4-byte Folded Spill
	v_fma_f64 v[80:81], v[175:176], s[0:1], v[80:81]
	v_add_f64 v[76:77], v[80:81], v[76:77]
	v_mul_f64 v[80:81], v[205:206], s[36:37]
	buffer_store_dword v80, off, s[44:47], 0 offset:264 ; 4-byte Folded Spill
	buffer_store_dword v81, off, s[44:47], 0 offset:268 ; 4-byte Folded Spill
	v_fma_f64 v[80:81], v[177:178], s[0:1], -v[80:81]
	v_add_f64 v[78:79], v[80:81], v[78:79]
	v_fma_f64 v[80:81], v[110:111], s[16:17], v[191:192]
	v_add_f64 v[80:81], v[100:101], v[80:81]
	v_add_f64 v[80:81], v[82:83], v[80:81]
	v_fma_f64 v[82:83], v[120:121], s[16:17], -v[193:194]
	v_add_f64 v[82:83], v[102:103], v[82:83]
	v_add_f64 v[82:83], v[108:109], v[82:83]
	v_fma_f64 v[108:109], v[155:156], s[0:1], v[122:123]
	v_add_f64 v[80:81], v[108:109], v[80:81]
	v_fma_f64 v[108:109], v[157:158], s[0:1], -v[124:125]
	v_add_f64 v[82:83], v[108:109], v[82:83]
	v_mul_f64 v[108:109], v[183:184], s[26:27]
	v_fma_f64 v[139:140], v[159:160], s[18:19], v[108:109]
	v_add_f64 v[80:81], v[139:140], v[80:81]
	v_fma_f64 v[139:140], v[161:162], s[18:19], -v[181:182]
	v_add_f64 v[82:83], v[139:140], v[82:83]
	v_fma_f64 v[139:140], v[167:168], s[4:5], v[241:242]
	v_add_f64 v[80:81], v[139:140], v[80:81]
	v_fma_f64 v[139:140], v[171:172], s[4:5], -v[169:170]
	v_add_f64 v[82:83], v[139:140], v[82:83]
	v_fma_f64 v[139:140], v[175:176], s[14:15], v[223:224]
	v_add_f64 v[80:81], v[139:140], v[80:81]
	v_fma_f64 v[139:140], v[177:178], s[14:15], -v[239:240]
	v_add_f64 v[82:83], v[139:140], v[82:83]
	v_mul_f64 v[139:140], v[86:87], s[20:21]
	v_fma_f64 v[86:87], v[151:152], s[4:5], v[139:140]
	v_add_f64 v[84:85], v[86:87], v[84:85]
	v_fma_f64 v[86:87], v[120:121], s[18:19], -v[197:198]
	v_add_f64 v[86:87], v[102:103], v[86:87]
	v_add_f64 v[86:87], v[135:136], v[86:87]
	v_fma_f64 v[135:136], v[155:156], s[16:17], v[141:142]
	v_add_f64 v[84:85], v[135:136], v[84:85]
	v_fma_f64 v[135:136], v[157:158], s[16:17], -v[145:146]
	v_add_f64 v[86:87], v[135:136], v[86:87]
	v_mul_f64 v[135:136], v[183:184], s[36:37]
	v_fma_f64 v[137:138], v[159:160], s[0:1], v[135:136]
	v_add_f64 v[84:85], v[137:138], v[84:85]
	v_mul_f64 v[137:138], v[185:186], s[36:37]
	v_mul_f64 v[185:186], v[187:188], s[24:25]
	;; [unrolled: 1-line block ×3, first 2 shown]
	v_fma_f64 v[143:144], v[161:162], s[0:1], -v[137:138]
	v_add_f64 v[86:87], v[143:144], v[86:87]
	v_fma_f64 v[143:144], v[167:168], s[14:15], v[185:186]
	v_add_f64 v[84:85], v[143:144], v[84:85]
	v_mul_f64 v[143:144], v[201:202], s[24:25]
	v_fma_f64 v[183:184], v[171:172], s[14:15], -v[143:144]
	v_add_f64 v[86:87], v[183:184], v[86:87]
	v_mul_f64 v[183:184], v[203:204], s[34:35]
	buffer_load_dword v203, off, s[44:47], 0 ; 4-byte Folded Reload
	v_fma_f64 v[201:202], v[175:176], s[6:7], v[183:184]
	v_add_f64 v[84:85], v[201:202], v[84:85]
	v_fma_f64 v[201:202], v[177:178], s[6:7], -v[187:188]
	v_add_f64 v[86:87], v[201:202], v[86:87]
	s_and_saveexec_b32 s20, vcc_lo
	s_cbranch_execz .LBB0_5
; %bb.4:
	v_mul_f64 v[201:202], v[120:121], s[18:19]
	v_add_f64 v[163:164], v[100:101], v[163:164]
	v_add_f64 v[197:198], v[197:198], v[201:202]
	v_mul_f64 v[201:202], v[110:111], s[18:19]
	v_add_f64 v[195:196], v[201:202], -v[195:196]
	v_mul_f64 v[201:202], v[120:121], s[16:17]
	v_add_f64 v[193:194], v[193:194], v[201:202]
	v_mul_f64 v[201:202], v[110:111], s[16:17]
	v_add_f64 v[193:194], v[102:103], v[193:194]
	v_add_f64 v[191:192], v[201:202], -v[191:192]
	v_mul_f64 v[201:202], v[120:121], s[14:15]
	v_add_f64 v[191:192], v[100:101], v[191:192]
	v_add_f64 v[189:190], v[189:190], v[201:202]
	v_mul_f64 v[201:202], v[110:111], s[14:15]
	v_add_f64 v[189:190], v[102:103], v[189:190]
	v_add_f64 v[149:150], v[201:202], -v[149:150]
	v_mul_f64 v[201:202], v[120:121], s[6:7]
	v_add_f64 v[149:150], v[100:101], v[149:150]
	v_add_f64 v[133:134], v[133:134], v[201:202]
	v_mul_f64 v[201:202], v[110:111], s[6:7]
	v_add_f64 v[133:134], v[102:103], v[133:134]
	v_add_f64 v[131:132], v[201:202], -v[131:132]
	v_mul_f64 v[201:202], v[120:121], s[0:1]
	v_mul_f64 v[120:121], v[120:121], s[4:5]
	v_add_f64 v[129:130], v[129:130], v[201:202]
	v_add_f64 v[116:117], v[116:117], v[120:121]
	v_mul_f64 v[201:202], v[110:111], s[0:1]
	v_mul_f64 v[110:111], v[110:111], s[4:5]
	v_add_f64 v[120:121], v[102:103], v[165:166]
	v_add_f64 v[165:166], v[102:103], v[197:198]
	;; [unrolled: 1-line block ×4, first 2 shown]
	v_mul_f64 v[102:103], v[151:152], s[4:5]
	v_add_f64 v[126:127], v[201:202], -v[126:127]
	v_add_f64 v[110:111], v[110:111], -v[173:174]
	v_add_f64 v[173:174], v[100:101], v[195:196]
	v_add_f64 v[195:196], v[100:101], v[131:132]
	v_mul_f64 v[131:132], v[157:158], s[16:17]
	v_mul_f64 v[129:130], v[177:178], s[6:7]
	v_add_f64 v[102:103], v[102:103], -v[139:140]
	v_mul_f64 v[139:140], v[155:156], s[16:17]
	v_add_f64 v[126:127], v[100:101], v[126:127]
	v_add_f64 v[110:111], v[100:101], v[110:111]
	v_mul_f64 v[100:101], v[153:154], s[4:5]
	v_add_f64 v[131:132], v[145:146], v[131:132]
	v_add_f64 v[129:130], v[187:188], v[129:130]
	v_mul_f64 v[187:188], v[161:162], s[4:5]
	v_add_f64 v[102:103], v[102:103], v[173:174]
	v_add_f64 v[139:140], v[139:140], -v[141:142]
	v_mul_f64 v[141:142], v[171:172], s[14:15]
	v_mul_f64 v[173:174], v[153:154], s[18:19]
	v_add_f64 v[100:101], v[147:148], v[100:101]
	v_mul_f64 v[147:148], v[177:178], s[4:5]
	v_add_f64 v[112:113], v[112:113], v[187:188]
	;; [unrolled: 2-line block ×3, first 2 shown]
	v_add_f64 v[141:142], v[143:144], v[141:142]
	v_mul_f64 v[143:144], v[161:162], s[0:1]
	v_add_f64 v[100:101], v[100:101], v[165:166]
	v_add_f64 v[173:174], v[251:252], v[173:174]
	v_mul_f64 v[165:166], v[175:176], s[4:5]
	v_add_f64 v[147:148], v[247:248], v[147:148]
	v_add_f64 v[187:188], v[187:188], -v[253:254]
	v_add_f64 v[137:138], v[137:138], v[143:144]
	v_mul_f64 v[143:144], v[159:160], s[0:1]
	v_add_f64 v[100:101], v[131:132], v[100:101]
	v_mul_f64 v[131:132], v[167:168], s[14:15]
	v_add_f64 v[133:134], v[173:174], v[133:134]
	v_add_f64 v[165:166], v[165:166], -v[231:232]
	v_add_f64 v[135:136], v[143:144], -v[135:136]
	v_add_f64 v[100:101], v[137:138], v[100:101]
	v_add_f64 v[131:132], v[131:132], -v[185:186]
	v_mul_f64 v[185:186], v[157:158], s[14:15]
	v_add_f64 v[102:103], v[135:136], v[102:103]
	v_mul_f64 v[135:136], v[175:176], s[6:7]
	v_add_f64 v[100:101], v[141:142], v[100:101]
	v_add_f64 v[106:107], v[106:107], v[185:186]
	v_mul_f64 v[185:186], v[155:156], s[14:15]
	v_add_f64 v[131:132], v[131:132], v[102:103]
	v_add_f64 v[135:136], v[135:136], -v[183:184]
	v_add_f64 v[102:103], v[129:130], v[100:101]
	v_mul_f64 v[129:130], v[153:154], s[0:1]
	v_add_f64 v[106:107], v[106:107], v[133:134]
	v_mul_f64 v[183:184], v[151:152], s[18:19]
	v_add_f64 v[185:186], v[185:186], -v[249:250]
	v_add_f64 v[100:101], v[135:136], v[131:132]
	s_clause 0xd
	buffer_load_dword v131, off, s[44:47], 0 offset:192
	buffer_load_dword v132, off, s[44:47], 0 offset:196
	;; [unrolled: 1-line block ×14, first 2 shown]
	v_add_f64 v[106:107], v[112:113], v[106:107]
	v_add_f64 v[183:184], v[183:184], -v[235:236]
	v_add_f64 v[173:174], v[183:184], v[195:196]
	v_add_f64 v[133:134], v[185:186], v[173:174]
	;; [unrolled: 1-line block ×3, first 2 shown]
	v_mul_f64 v[133:134], v[175:176], s[16:17]
	v_add_f64 v[133:134], v[133:134], -v[211:212]
	s_waitcnt vmcnt(12)
	v_add_f64 v[129:130], v[131:132], v[129:130]
	v_mul_f64 v[131:132], v[151:152], s[0:1]
	v_add_f64 v[116:117], v[129:130], v[116:117]
	s_waitcnt vmcnt(10)
	v_add_f64 v[131:132], v[131:132], -v[135:136]
	v_mul_f64 v[135:136], v[157:158], s[6:7]
	v_mul_f64 v[129:130], v[167:168], s[16:17]
	v_add_f64 v[110:111], v[131:132], v[110:111]
	s_clause 0x1
	buffer_load_dword v131, off, s[44:47], 0 offset:232
	buffer_load_dword v132, off, s[44:47], 0 offset:236
	s_waitcnt vmcnt(10)
	v_add_f64 v[135:136], v[137:138], v[135:136]
	v_mul_f64 v[137:138], v[155:156], s[6:7]
	v_add_f64 v[116:117], v[135:136], v[116:117]
	s_waitcnt vmcnt(8)
	v_add_f64 v[137:138], v[137:138], -v[139:140]
	v_mul_f64 v[139:140], v[161:162], s[14:15]
	v_mul_f64 v[135:136], v[175:176], s[18:19]
	v_add_f64 v[110:111], v[137:138], v[110:111]
	s_waitcnt vmcnt(6)
	v_add_f64 v[139:140], v[141:142], v[139:140]
	v_mul_f64 v[141:142], v[159:160], s[14:15]
	v_mul_f64 v[137:138], v[155:156], s[18:19]
	v_add_f64 v[135:136], v[135:136], -v[215:216]
	v_add_f64 v[116:117], v[139:140], v[116:117]
	s_waitcnt vmcnt(4)
	v_add_f64 v[141:142], v[141:142], -v[143:144]
	v_mul_f64 v[143:144], v[171:172], s[16:17]
	v_add_f64 v[137:138], v[137:138], -v[217:218]
	v_mul_f64 v[139:140], v[161:162], s[16:17]
	v_add_f64 v[110:111], v[141:142], v[110:111]
	s_waitcnt vmcnt(2)
	v_add_f64 v[143:144], v[145:146], v[143:144]
	v_mul_f64 v[141:142], v[159:160], s[16:17]
	v_mul_f64 v[145:146], v[167:168], s[6:7]
	v_add_f64 v[139:140], v[237:238], v[139:140]
	v_add_f64 v[116:117], v[143:144], v[116:117]
	v_add_f64 v[141:142], v[141:142], -v[225:226]
	v_add_f64 v[145:146], v[145:146], -v[233:234]
	v_mul_f64 v[143:144], v[171:172], s[6:7]
	v_add_f64 v[143:144], v[245:246], v[143:144]
	s_waitcnt vmcnt(0)
	v_add_f64 v[129:130], v[129:130], -v[131:132]
	v_mul_f64 v[131:132], v[177:178], s[18:19]
	v_add_f64 v[110:111], v[129:130], v[110:111]
	v_add_f64 v[131:132], v[229:230], v[131:132]
	;; [unrolled: 1-line block ×4, first 2 shown]
	v_mul_f64 v[116:117], v[151:152], s[14:15]
	v_mul_f64 v[110:111], v[153:154], s[14:15]
	;; [unrolled: 1-line block ×3, first 2 shown]
	v_add_f64 v[116:117], v[116:117], -v[213:214]
	v_add_f64 v[110:111], v[221:222], v[110:111]
	v_add_f64 v[135:136], v[227:228], v[135:136]
	;; [unrolled: 1-line block ×3, first 2 shown]
	v_mul_f64 v[126:127], v[171:172], s[0:1]
	v_add_f64 v[110:111], v[110:111], v[197:198]
	v_add_f64 v[116:117], v[137:138], v[116:117]
	s_clause 0x1
	buffer_load_dword v137, off, s[44:47], 0 offset:104
	buffer_load_dword v138, off, s[44:47], 0 offset:108
	v_add_f64 v[126:127], v[179:180], v[126:127]
	v_add_f64 v[110:111], v[135:136], v[110:111]
	v_mul_f64 v[135:136], v[167:168], s[0:1]
	v_add_f64 v[116:117], v[141:142], v[116:117]
	v_add_f64 v[126:127], v[126:127], v[106:107]
	;; [unrolled: 1-line block ×3, first 2 shown]
	v_add_f64 v[135:136], v[135:136], -v[243:244]
	v_mul_f64 v[139:140], v[177:178], s[16:17]
	v_add_f64 v[116:117], v[145:146], v[116:117]
	v_add_f64 v[110:111], v[143:144], v[110:111]
	;; [unrolled: 1-line block ×3, first 2 shown]
	v_mul_f64 v[143:144], v[155:156], s[4:5]
	v_add_f64 v[139:140], v[219:220], v[139:140]
	s_waitcnt vmcnt(0)
	v_add_f64 v[120:121], v[120:121], v[137:138]
	s_clause 0x3
	buffer_load_dword v137, off, s[44:47], 0 offset:80
	buffer_load_dword v138, off, s[44:47], 0 offset:84
	;; [unrolled: 1-line block ×4, first 2 shown]
	s_waitcnt vmcnt(2)
	v_add_f64 v[137:138], v[163:164], v[137:138]
	s_waitcnt vmcnt(0)
	v_add_f64 v[120:121], v[120:121], v[141:142]
	s_clause 0x5
	buffer_load_dword v141, off, s[44:47], 0 offset:96
	buffer_load_dword v142, off, s[44:47], 0 offset:100
	;; [unrolled: 1-line block ×6, first 2 shown]
	s_waitcnt vmcnt(4)
	v_add_f64 v[137:138], v[137:138], v[141:142]
	s_waitcnt vmcnt(2)
	v_add_f64 v[106:107], v[120:121], v[106:107]
	v_mul_f64 v[120:121], v[157:158], s[0:1]
	s_waitcnt vmcnt(0)
	v_add_f64 v[112:113], v[137:138], v[112:113]
	v_add_f64 v[120:121], v[124:125], v[120:121]
	s_clause 0x1
	buffer_load_dword v124, off, s[44:47], 0 offset:88
	buffer_load_dword v125, off, s[44:47], 0 offset:92
	s_waitcnt vmcnt(0)
	v_add_f64 v[106:107], v[106:107], v[124:125]
	s_clause 0x3
	buffer_load_dword v124, off, s[44:47], 0 offset:64
	buffer_load_dword v125, off, s[44:47], 0 offset:68
	;; [unrolled: 1-line block ×4, first 2 shown]
	s_waitcnt vmcnt(2)
	v_add_f64 v[112:113], v[112:113], v[124:125]
	s_waitcnt vmcnt(0)
	v_add_f64 v[106:107], v[106:107], v[137:138]
	s_clause 0x3
	buffer_load_dword v137, off, s[44:47], 0 offset:40
	buffer_load_dword v138, off, s[44:47], 0 offset:44
	;; [unrolled: 1-line block ×4, first 2 shown]
	v_mul_f64 v[124:125], v[153:154], s[6:7]
	v_add_f64 v[118:119], v[118:119], v[124:125]
	v_mul_f64 v[124:125], v[155:156], s[0:1]
	v_add_f64 v[118:119], v[118:119], v[193:194]
	v_add_f64 v[122:123], v[124:125], -v[122:123]
	v_mul_f64 v[124:125], v[151:152], s[6:7]
	v_add_f64 v[118:119], v[120:121], v[118:119]
	v_mul_f64 v[120:121], v[159:160], s[18:19]
	v_add_f64 v[114:115], v[124:125], -v[114:115]
	v_mul_f64 v[124:125], v[153:154], s[16:17]
	v_add_f64 v[108:109], v[120:121], -v[108:109]
	v_add_f64 v[114:115], v[114:115], v[191:192]
	v_mul_f64 v[120:121], v[161:162], s[6:7]
	v_add_f64 v[124:125], v[209:210], v[124:125]
	v_add_f64 v[114:115], v[122:123], v[114:115]
	;; [unrolled: 1-line block ×4, first 2 shown]
	s_waitcnt vmcnt(2)
	v_add_f64 v[112:113], v[112:113], v[137:138]
	v_mul_f64 v[137:138], v[151:152], s[16:17]
	s_waitcnt vmcnt(0)
	v_add_f64 v[137:138], v[137:138], -v[141:142]
	s_clause 0x1
	buffer_load_dword v141, off, s[44:47], 0 offset:176
	buffer_load_dword v142, off, s[44:47], 0 offset:180
	v_add_f64 v[137:138], v[137:138], v[149:150]
	s_waitcnt vmcnt(0)
	v_add_f64 v[106:107], v[106:107], v[141:142]
	s_clause 0x3
	buffer_load_dword v141, off, s[44:47], 0 offset:168
	buffer_load_dword v142, off, s[44:47], 0 offset:172
	;; [unrolled: 1-line block ×4, first 2 shown]
	s_waitcnt vmcnt(2)
	v_add_f64 v[112:113], v[112:113], v[141:142]
	s_waitcnt vmcnt(0)
	v_add_f64 v[143:144], v[143:144], -v[145:146]
	s_clause 0x1
	buffer_load_dword v145, off, s[44:47], 0 offset:160
	buffer_load_dword v146, off, s[44:47], 0 offset:164
	v_mul_f64 v[141:142], v[157:158], s[4:5]
	v_add_f64 v[137:138], v[143:144], v[137:138]
	v_mul_f64 v[143:144], v[167:168], s[4:5]
	v_add_f64 v[141:142], v[207:208], v[141:142]
	v_add_f64 v[143:144], v[143:144], -v[241:242]
	v_add_f64 v[124:125], v[141:142], v[124:125]
	v_mul_f64 v[141:142], v[159:160], s[6:7]
	s_waitcnt vmcnt(0)
	v_add_f64 v[106:107], v[106:107], v[145:146]
	s_clause 0x3
	buffer_load_dword v145, off, s[44:47], 0 offset:152
	buffer_load_dword v146, off, s[44:47], 0 offset:156
	;; [unrolled: 1-line block ×4, first 2 shown]
	s_waitcnt vmcnt(2)
	v_add_f64 v[112:113], v[112:113], v[145:146]
	s_waitcnt vmcnt(0)
	v_add_f64 v[120:121], v[149:150], v[120:121]
	s_clause 0x3
	buffer_load_dword v149, off, s[44:47], 0 offset:272
	buffer_load_dword v150, off, s[44:47], 0 offset:276
	;; [unrolled: 1-line block ×4, first 2 shown]
	v_mul_f64 v[145:146], v[161:162], s[18:19]
	v_add_f64 v[120:121], v[120:121], v[124:125]
	v_mul_f64 v[124:125], v[167:168], s[18:19]
	v_add_f64 v[145:146], v[181:182], v[145:146]
	v_add_f64 v[118:119], v[145:146], v[118:119]
	v_mul_f64 v[145:146], v[171:172], s[18:19]
	s_waitcnt vmcnt(2)
	v_add_f64 v[141:142], v[141:142], -v[149:150]
	s_waitcnt vmcnt(0)
	v_add_f64 v[106:107], v[106:107], v[122:123]
	s_clause 0x3
	buffer_load_dword v122, off, s[44:47], 0 offset:136
	buffer_load_dword v123, off, s[44:47], 0 offset:140
	;; [unrolled: 1-line block ×4, first 2 shown]
	v_add_f64 v[137:138], v[141:142], v[137:138]
	v_mul_f64 v[141:142], v[177:178], s[0:1]
	s_waitcnt vmcnt(2)
	v_add_f64 v[112:113], v[112:113], v[122:123]
	s_waitcnt vmcnt(0)
	v_add_f64 v[145:146], v[149:150], v[145:146]
	s_clause 0x3
	buffer_load_dword v149, off, s[44:47], 0 offset:256
	buffer_load_dword v150, off, s[44:47], 0 offset:260
	;; [unrolled: 1-line block ×4, first 2 shown]
	v_mul_f64 v[122:123], v[171:172], s[4:5]
	v_add_f64 v[120:121], v[145:146], v[120:121]
	v_mul_f64 v[145:146], v[175:176], s[0:1]
	v_add_f64 v[122:123], v[169:170], v[122:123]
	v_add_f64 v[118:119], v[122:123], v[118:119]
	v_mul_f64 v[122:123], v[175:176], s[14:15]
	v_add_f64 v[122:123], v[122:123], -v[223:224]
	s_waitcnt vmcnt(2)
	v_add_f64 v[124:125], v[124:125], -v[149:150]
	s_waitcnt vmcnt(0)
	v_add_f64 v[106:107], v[106:107], v[114:115]
	s_clause 0x3
	buffer_load_dword v114, off, s[44:47], 0 offset:120
	buffer_load_dword v115, off, s[44:47], 0 offset:124
	;; [unrolled: 1-line block ×4, first 2 shown]
	v_add_f64 v[124:125], v[124:125], v[137:138]
	v_add_f64 v[137:138], v[143:144], v[108:109]
	s_waitcnt vmcnt(2)
	v_add_f64 v[112:113], v[112:113], v[114:115]
	s_waitcnt vmcnt(0)
	v_add_f64 v[141:142], v[149:150], v[141:142]
	s_clause 0x3
	buffer_load_dword v149, off, s[44:47], 0 offset:240
	buffer_load_dword v150, off, s[44:47], 0 offset:244
	;; [unrolled: 1-line block ×4, first 2 shown]
	v_mul_f64 v[114:115], v[177:178], s[14:15]
	v_add_f64 v[120:121], v[141:142], v[120:121]
	v_add_f64 v[114:115], v[239:240], v[114:115]
	s_waitcnt vmcnt(2)
	v_add_f64 v[145:146], v[145:146], -v[149:150]
	s_waitcnt vmcnt(0)
	v_add_f64 v[143:144], v[106:107], v[108:109]
	s_clause 0x1
	buffer_load_dword v106, off, s[44:47], 0 offset:32
	buffer_load_dword v107, off, s[44:47], 0 offset:36
	v_add_f64 v[108:109], v[147:148], v[110:111]
	v_add_f64 v[110:111], v[133:134], v[135:136]
	s_waitcnt vmcnt(0)
	v_add_f64 v[149:150], v[112:113], v[106:107]
	v_add_f64 v[106:107], v[165:166], v[116:117]
	;; [unrolled: 1-line block ×4, first 2 shown]
	s_clause 0x1
	buffer_load_dword v122, off, s[44:47], 0 offset:16
	buffer_load_dword v123, off, s[44:47], 0 offset:20
	v_add_f64 v[118:119], v[145:146], v[124:125]
	v_add_f64 v[112:113], v[139:140], v[126:127]
	s_waitcnt vmcnt(0)
	v_add_f64 v[124:125], v[143:144], v[122:123]
	s_clause 0x2
	buffer_load_dword v122, off, s[44:47], 0 offset:8
	buffer_load_dword v123, off, s[44:47], 0 offset:12
	buffer_load_dword v126, off, s[44:47], 0 offset:4
	s_waitcnt vmcnt(1)
	v_add_f64 v[122:123], v[149:150], v[122:123]
	s_waitcnt vmcnt(0)
	v_lshl_add_u32 v126, v203, 4, v126
	ds_write_b128 v126, v[84:87] offset:784
	ds_write_b128 v126, v[80:83] offset:896
	;; [unrolled: 1-line block ×11, first 2 shown]
	ds_write_b128 v255, v[122:125]
	ds_write_b128 v126, v[92:95] offset:1344
.LBB0_5:
	s_or_b32 exec_lo, exec_lo, s20
	s_add_u32 s0, s12, 0x5b0
	s_addc_u32 s1, s13, 0
	s_waitcnt vmcnt(0) lgkmcnt(0)
	s_waitcnt_vscnt null, 0x0
	s_barrier
	buffer_gl0_inv
	s_clause 0x6
	global_load_dwordx4 v[100:103], v[104:105], off offset:1456
	global_load_dwordx4 v[104:107], v199, s[0:1] offset:208
	global_load_dwordx4 v[108:111], v199, s[0:1] offset:416
	;; [unrolled: 1-line block ×6, first 2 shown]
	ds_read_b128 v[129:132], v255
	ds_read_b128 v[133:136], v255 offset:208
	ds_read_b128 v[137:140], v255 offset:416
	;; [unrolled: 1-line block ×6, first 2 shown]
	s_mov_b32 s0, 0x37e14327
	s_mov_b32 s1, 0x3fe948f6
	;; [unrolled: 1-line block ×10, first 2 shown]
	s_waitcnt vmcnt(6) lgkmcnt(6)
	v_mul_f64 v[157:158], v[131:132], v[102:103]
	v_mul_f64 v[102:103], v[129:130], v[102:103]
	s_waitcnt vmcnt(5) lgkmcnt(5)
	v_mul_f64 v[159:160], v[135:136], v[106:107]
	v_mul_f64 v[106:107], v[133:134], v[106:107]
	;; [unrolled: 3-line block ×7, first 2 shown]
	v_fma_f64 v[129:130], v[129:130], v[100:101], -v[157:158]
	v_fma_f64 v[131:132], v[131:132], v[100:101], v[102:103]
	v_fma_f64 v[100:101], v[133:134], v[104:105], -v[159:160]
	v_fma_f64 v[102:103], v[135:136], v[104:105], v[106:107]
	;; [unrolled: 2-line block ×7, first 2 shown]
	ds_write_b128 v255, v[129:132]
	ds_write_b128 v255, v[100:103] offset:208
	ds_write_b128 v255, v[104:107] offset:416
	;; [unrolled: 1-line block ×6, first 2 shown]
	s_waitcnt lgkmcnt(0)
	s_barrier
	buffer_gl0_inv
	ds_read_b128 v[100:103], v255 offset:208
	ds_read_b128 v[104:107], v255 offset:1248
	ds_read_b128 v[108:111], v255 offset:1040
	ds_read_b128 v[112:115], v255 offset:416
	ds_read_b128 v[116:119], v255 offset:832
	ds_read_b128 v[120:123], v255 offset:624
	s_waitcnt lgkmcnt(4)
	v_add_f64 v[124:125], v[100:101], v[104:105]
	v_add_f64 v[126:127], v[102:103], v[106:107]
	s_waitcnt lgkmcnt(2)
	v_add_f64 v[129:130], v[112:113], v[108:109]
	v_add_f64 v[131:132], v[114:115], v[110:111]
	;; [unrolled: 3-line block ×3, first 2 shown]
	v_add_f64 v[108:109], v[112:113], -v[108:109]
	v_add_f64 v[110:111], v[114:115], -v[110:111]
	;; [unrolled: 1-line block ×6, first 2 shown]
	ds_read_b128 v[100:103], v255
	s_waitcnt lgkmcnt(0)
	s_barrier
	buffer_gl0_inv
	v_add_f64 v[116:117], v[129:130], v[124:125]
	v_add_f64 v[118:119], v[131:132], v[126:127]
	v_add_f64 v[120:121], v[124:125], -v[133:134]
	v_add_f64 v[122:123], v[126:127], -v[135:136]
	;; [unrolled: 1-line block ×10, first 2 shown]
	v_add_f64 v[108:109], v[112:113], v[108:109]
	v_add_f64 v[110:111], v[114:115], v[110:111]
	v_add_f64 v[112:113], v[104:105], -v[112:113]
	v_add_f64 v[114:115], v[106:107], -v[114:115]
	v_add_f64 v[116:117], v[133:134], v[116:117]
	v_add_f64 v[118:119], v[135:136], v[118:119]
	v_mul_f64 v[120:121], v[120:121], s[0:1]
	v_mul_f64 v[122:123], v[122:123], s[0:1]
	s_mov_b32 s0, 0x429ad128
	v_mul_f64 v[129:130], v[137:138], s[4:5]
	v_mul_f64 v[131:132], v[139:140], s[4:5]
	v_mul_f64 v[133:134], v[141:142], s[6:7]
	v_mul_f64 v[135:136], v[143:144], s[6:7]
	s_mov_b32 s1, 0xbfebfeb5
	s_mov_b32 s6, 0xaaaaaaaa
	v_mul_f64 v[141:142], v[145:146], s[0:1]
	v_mul_f64 v[143:144], v[147:148], s[0:1]
	s_mov_b32 s7, 0xbff2aaaa
	v_add_f64 v[104:105], v[108:109], v[104:105]
	v_add_f64 v[106:107], v[110:111], v[106:107]
	;; [unrolled: 1-line block ×4, first 2 shown]
	v_fma_f64 v[108:109], v[137:138], s[4:5], v[120:121]
	v_fma_f64 v[110:111], v[139:140], s[4:5], v[122:123]
	v_fma_f64 v[129:130], v[124:125], s[12:13], -v[129:130]
	v_fma_f64 v[131:132], v[126:127], s[12:13], -v[131:132]
	s_mov_b32 s13, 0xbfe77f67
	v_fma_f64 v[137:138], v[112:113], s[14:15], v[133:134]
	v_fma_f64 v[139:140], v[114:115], s[14:15], v[135:136]
	s_mov_b32 s15, 0x3fd5d0dc
	v_fma_f64 v[133:134], v[145:146], s[0:1], -v[133:134]
	v_fma_f64 v[135:136], v[147:148], s[0:1], -v[135:136]
	;; [unrolled: 1-line block ×6, first 2 shown]
	s_mov_b32 s0, 0x37c3f68c
	s_mov_b32 s1, 0xbfdc38aa
	v_fma_f64 v[116:117], v[116:117], s[6:7], v[100:101]
	v_fma_f64 v[118:119], v[118:119], s[6:7], v[102:103]
	;; [unrolled: 1-line block ×8, first 2 shown]
	v_add_f64 v[141:142], v[108:109], v[116:117]
	v_add_f64 v[143:144], v[110:111], v[118:119]
	;; [unrolled: 1-line block ×7, first 2 shown]
	v_add_f64 v[122:123], v[143:144], -v[137:138]
	v_add_f64 v[124:125], v[108:109], v[106:107]
	v_add_f64 v[126:127], v[110:111], -v[104:105]
	v_add_f64 v[116:117], v[112:113], -v[135:136]
	v_add_f64 v[118:119], v[133:134], v[114:115]
	v_add_f64 v[112:113], v[112:113], v[135:136]
	v_add_f64 v[114:115], v[114:115], -v[133:134]
	v_add_f64 v[108:109], v[108:109], -v[106:107]
	v_add_f64 v[110:111], v[104:105], v[110:111]
	v_add_f64 v[104:105], v[141:142], -v[139:140]
	v_add_f64 v[106:107], v[137:138], v[143:144]
	ds_write_b128 v200, v[100:103]
	ds_write_b128 v200, v[120:123] offset:16
	ds_write_b128 v200, v[124:127] offset:32
	;; [unrolled: 1-line block ×6, first 2 shown]
	s_waitcnt lgkmcnt(0)
	s_barrier
	buffer_gl0_inv
	s_and_saveexec_b32 s0, vcc_lo
	s_cbranch_execz .LBB0_7
; %bb.6:
	ds_read_b128 v[100:103], v255
	ds_read_b128 v[120:123], v255 offset:112
	ds_read_b128 v[124:127], v255 offset:224
	;; [unrolled: 1-line block ×12, first 2 shown]
.LBB0_7:
	s_or_b32 exec_lo, exec_lo, s0
	s_and_saveexec_b32 s33, vcc_lo
	s_cbranch_execz .LBB0_9
; %bb.8:
	s_waitcnt lgkmcnt(11)
	v_mul_f64 v[129:130], v[30:31], v[122:123]
	s_waitcnt lgkmcnt(0)
	v_mul_f64 v[131:132], v[62:63], v[94:95]
	v_mul_f64 v[30:31], v[30:31], v[120:121]
	;; [unrolled: 1-line block ×12, first 2 shown]
	s_mov_b32 s20, 0x4bc48dbf
	s_mov_b32 s21, 0xbfcea1e5
	v_mul_f64 v[137:138], v[34:35], v[106:107]
	s_mov_b32 s14, 0x93053d00
	s_mov_b32 s27, 0x3fddbe06
	;; [unrolled: 1-line block ×4, first 2 shown]
	v_mul_f64 v[34:35], v[34:35], v[104:105]
	s_mov_b32 s24, 0x24c2f84
	v_fma_f64 v[120:121], v[28:29], v[120:121], v[129:130]
	v_fma_f64 v[38:39], v[60:61], v[92:93], v[131:132]
	v_fma_f64 v[92:93], v[28:29], v[122:123], -v[30:31]
	v_fma_f64 v[54:55], v[60:61], v[94:95], -v[62:63]
	v_mul_f64 v[28:29], v[42:43], v[108:109]
	v_mul_f64 v[30:31], v[50:51], v[80:81]
	;; [unrolled: 1-line block ×5, first 2 shown]
	v_fma_f64 v[70:71], v[52:53], v[124:125], v[133:134]
	v_fma_f64 v[42:43], v[68:69], v[96:97], v[135:136]
	v_fma_f64 v[74:75], v[52:53], v[126:127], -v[143:144]
	v_fma_f64 v[50:51], v[68:69], v[98:99], -v[145:146]
	v_mul_f64 v[122:123], v[46:47], v[114:115]
	v_mul_f64 v[129:130], v[66:67], v[78:79]
	;; [unrolled: 1-line block ×4, first 2 shown]
	v_fma_f64 v[52:53], v[72:73], v[90:91], -v[151:152]
	s_mov_b32 s12, 0xe00740e9
	s_mov_b32 s25, 0xbfe5384d
	;; [unrolled: 1-line block ×3, first 2 shown]
	v_fma_f64 v[126:127], v[40:41], v[108:109], v[147:148]
	s_mov_b32 s6, 0x66966769
	v_add_f64 v[58:59], v[120:121], -v[38:39]
	s_mov_b32 s28, 0x42a4c3d2
	v_add_f64 v[68:69], v[92:93], -v[54:55]
	s_mov_b32 s7, 0x3fefc445
	s_mov_b32 s29, 0x3fea55e2
	v_fma_f64 v[94:95], v[56:57], v[116:117], v[60:61]
	v_fma_f64 v[46:47], v[72:73], v[88:89], v[62:63]
	v_fma_f64 v[88:89], v[56:57], v[118:119], -v[131:132]
	v_add_f64 v[60:61], v[92:93], v[54:55]
	v_add_f64 v[66:67], v[70:71], -v[42:43]
	v_add_f64 v[56:57], v[120:121], v[38:39]
	v_add_f64 v[62:63], v[74:75], -v[50:51]
	v_fma_f64 v[133:134], v[44:45], v[112:113], v[122:123]
	v_fma_f64 v[72:73], v[64:65], v[76:77], v[129:130]
	v_fma_f64 v[135:136], v[44:45], v[114:115], -v[96:97]
	v_fma_f64 v[44:45], v[64:65], v[78:79], -v[98:99]
	v_add_f64 v[96:97], v[74:75], v[50:51]
	v_add_f64 v[90:91], v[70:71], v[42:43]
	v_fma_f64 v[122:123], v[32:33], v[104:105], v[137:138]
	v_fma_f64 v[116:117], v[36:37], v[84:85], v[139:140]
	;; [unrolled: 1-line block ×3, first 2 shown]
	v_fma_f64 v[131:132], v[40:41], v[110:111], -v[28:29]
	v_mul_f64 v[118:119], v[58:59], s[20:21]
	v_mul_f64 v[137:138], v[58:59], s[24:25]
	v_mul_f64 v[124:125], v[68:69], s[20:21]
	v_mul_f64 v[139:140], v[68:69], s[24:25]
	v_fma_f64 v[98:99], v[48:49], v[82:83], -v[30:31]
	s_mov_b32 s0, 0xebaa3ed8
	v_add_f64 v[112:113], v[94:95], -v[46:47]
	v_add_f64 v[114:115], v[88:89], -v[52:53]
	v_add_f64 v[48:49], v[88:89], v[52:53]
	v_mul_f64 v[76:77], v[66:67], s[26:27]
	v_add_f64 v[64:65], v[94:95], v[46:47]
	v_mul_f64 v[78:79], v[62:63], s[26:27]
	v_mul_f64 v[143:144], v[66:67], s[6:7]
	v_add_f64 v[108:109], v[133:134], -v[72:73]
	v_mul_f64 v[145:146], v[62:63], s[6:7]
	v_add_f64 v[110:111], v[135:136], -v[44:45]
	v_add_f64 v[40:41], v[133:134], v[72:73]
	s_mov_b32 s18, 0x2ef20147
	s_mov_b32 s22, 0x1ea71119
	;; [unrolled: 1-line block ×5, first 2 shown]
	v_fma_f64 v[104:105], v[60:61], s[14:15], v[118:119]
	v_fma_f64 v[118:119], v[60:61], s[14:15], -v[118:119]
	v_fma_f64 v[129:130], v[56:57], s[14:15], -v[124:125]
	v_fma_f64 v[124:125], v[56:57], s[14:15], v[124:125]
	v_fma_f64 v[147:148], v[60:61], s[16:17], v[137:138]
	v_fma_f64 v[149:150], v[56:57], s[16:17], -v[139:140]
	v_mul_f64 v[28:29], v[112:113], s[24:25]
	v_mul_f64 v[30:31], v[114:115], s[24:25]
	s_mov_b32 s31, 0xbfea55e2
	v_fma_f64 v[80:81], v[96:97], s[12:13], v[76:77]
	v_fma_f64 v[76:77], v[96:97], s[12:13], -v[76:77]
	v_fma_f64 v[82:83], v[90:91], s[12:13], -v[78:79]
	v_fma_f64 v[78:79], v[90:91], s[12:13], v[78:79]
	s_mov_b32 s30, s28
	v_fma_f64 v[163:164], v[96:97], s[0:1], v[143:144]
	v_mul_f64 v[157:158], v[114:115], s[30:31]
	v_fma_f64 v[165:166], v[90:91], s[0:1], -v[145:146]
	v_fma_f64 v[137:138], v[60:61], s[16:17], -v[137:138]
	s_mov_b32 s4, 0xb2365da1
	s_mov_b32 s5, 0xbfd6b1d8
	;; [unrolled: 1-line block ×4, first 2 shown]
	v_add_f64 v[151:152], v[102:103], v[104:105]
	v_add_f64 v[118:119], v[102:103], v[118:119]
	;; [unrolled: 1-line block ×4, first 2 shown]
	v_fma_f64 v[129:130], v[32:33], v[106:107], -v[34:35]
	v_fma_f64 v[124:125], v[36:37], v[86:87], -v[141:142]
	v_add_f64 v[86:87], v[126:127], -v[84:85]
	v_add_f64 v[36:37], v[135:136], v[44:45]
	v_add_f64 v[104:105], v[131:132], -v[98:99]
	v_mul_f64 v[32:33], v[108:109], s[28:29]
	v_mul_f64 v[34:35], v[110:111], s[28:29]
	v_fma_f64 v[159:160], v[48:49], s[16:17], v[28:29]
	v_fma_f64 v[161:162], v[64:65], s[16:17], -v[30:31]
	v_fma_f64 v[28:29], v[48:49], s[16:17], -v[28:29]
	v_fma_f64 v[30:31], v[64:65], s[16:17], v[30:31]
	v_mul_f64 v[141:142], v[112:113], s[30:31]
	v_add_f64 v[147:148], v[102:103], v[147:148]
	v_add_f64 v[149:150], v[100:101], v[149:150]
	v_add_f64 v[106:107], v[122:123], -v[116:117]
	v_mul_f64 v[171:172], v[110:111], s[36:37]
	v_fma_f64 v[179:180], v[64:65], s[22:23], -v[157:158]
	v_mul_f64 v[181:182], v[58:59], s[18:19]
	v_add_f64 v[151:152], v[80:81], v[151:152]
	v_add_f64 v[76:77], v[76:77], v[118:119]
	;; [unrolled: 1-line block ×5, first 2 shown]
	v_add_f64 v[118:119], v[129:130], -v[124:125]
	v_add_f64 v[82:83], v[126:127], v[84:85]
	v_mul_f64 v[155:156], v[86:87], s[18:19]
	v_mul_f64 v[167:168], v[104:105], s[18:19]
	v_fma_f64 v[173:174], v[36:37], s[22:23], v[32:33]
	v_fma_f64 v[175:176], v[40:41], s[22:23], -v[34:35]
	v_fma_f64 v[32:33], v[36:37], s[22:23], -v[32:33]
	v_fma_f64 v[34:35], v[40:41], s[22:23], v[34:35]
	v_mul_f64 v[183:184], v[68:69], s[18:19]
	v_add_f64 v[137:138], v[102:103], v[137:138]
	v_fma_f64 v[177:178], v[48:49], s[22:23], v[141:142]
	v_add_f64 v[147:148], v[163:164], v[147:148]
	v_add_f64 v[149:150], v[165:166], v[149:150]
	s_mov_b32 s35, 0xbfefc445
	s_mov_b32 s39, 0x3fe5384d
	;; [unrolled: 1-line block ×4, first 2 shown]
	v_add_f64 v[151:152], v[159:160], v[151:152]
	v_add_f64 v[28:29], v[28:29], v[76:77]
	;; [unrolled: 1-line block ×6, first 2 shown]
	v_mul_f64 v[159:160], v[106:107], s[6:7]
	v_mul_f64 v[161:162], v[118:119], s[6:7]
	v_fma_f64 v[185:186], v[80:81], s[4:5], v[155:156]
	v_fma_f64 v[187:188], v[82:83], s[4:5], -v[167:168]
	v_fma_f64 v[155:156], v[80:81], s[4:5], -v[155:156]
	v_mul_f64 v[169:170], v[108:109], s[36:37]
	v_fma_f64 v[167:168], v[82:83], s[4:5], v[167:168]
	v_fma_f64 v[191:192], v[40:41], s[14:15], -v[171:172]
	v_fma_f64 v[195:196], v[56:57], s[4:5], -v[183:184]
	v_fma_f64 v[145:146], v[90:91], s[0:1], v[145:146]
	v_add_f64 v[147:148], v[177:178], v[147:148]
	v_add_f64 v[149:150], v[179:180], v[149:150]
	v_fma_f64 v[179:180], v[60:61], s[4:5], v[181:182]
	v_fma_f64 v[141:142], v[48:49], s[22:23], -v[141:142]
	v_mul_f64 v[163:164], v[86:87], s[26:27]
	v_fma_f64 v[181:182], v[60:61], s[4:5], -v[181:182]
	v_add_f64 v[151:152], v[173:174], v[151:152]
	v_add_f64 v[28:29], v[32:33], v[28:29]
	;; [unrolled: 1-line block ×4, first 2 shown]
	v_fma_f64 v[32:33], v[56:57], s[16:17], v[139:140]
	v_fma_f64 v[34:35], v[96:97], s[0:1], -v[143:144]
	v_mul_f64 v[139:140], v[66:67], s[38:39]
	v_mul_f64 v[143:144], v[62:63], s[38:39]
	v_fma_f64 v[177:178], v[78:79], s[0:1], v[159:160]
	v_fma_f64 v[193:194], v[76:77], s[0:1], -v[161:162]
	v_fma_f64 v[159:160], v[78:79], s[0:1], -v[159:160]
	v_fma_f64 v[189:190], v[36:37], s[14:15], v[169:170]
	v_fma_f64 v[161:162], v[76:77], s[0:1], v[161:162]
	v_fma_f64 v[183:184], v[56:57], s[4:5], v[183:184]
	v_add_f64 v[195:196], v[100:101], v[195:196]
	v_add_f64 v[92:93], v[102:103], v[92:93]
	;; [unrolled: 1-line block ×4, first 2 shown]
	v_mul_f64 v[191:192], v[114:115], s[26:27]
	v_add_f64 v[179:180], v[102:103], v[179:180]
	s_mov_b32 s41, 0x3fedeba7
	s_mov_b32 s40, s18
	v_add_f64 v[151:152], v[185:186], v[151:152]
	v_add_f64 v[155:156], v[155:156], v[28:29]
	;; [unrolled: 1-line block ×3, first 2 shown]
	v_mul_f64 v[185:186], v[58:59], s[34:35]
	v_add_f64 v[187:188], v[100:101], v[32:33]
	v_add_f64 v[137:138], v[34:35], v[137:138]
	;; [unrolled: 1-line block ×3, first 2 shown]
	v_fma_f64 v[201:202], v[96:97], s[16:17], v[139:140]
	v_fma_f64 v[205:206], v[90:91], s[16:17], -v[143:144]
	v_mul_f64 v[165:166], v[104:105], s[26:27]
	v_fma_f64 v[197:198], v[80:81], s[12:13], v[163:164]
	v_add_f64 v[147:148], v[189:190], v[147:148]
	v_mul_f64 v[189:190], v[112:113], s[26:27]
	v_fma_f64 v[139:140], v[96:97], s[16:17], -v[139:140]
	v_add_f64 v[181:182], v[102:103], v[181:182]
	v_fma_f64 v[143:144], v[90:91], s[16:17], v[143:144]
	v_add_f64 v[183:184], v[100:101], v[183:184]
	v_fma_f64 v[171:172], v[40:41], s[14:15], v[171:172]
	v_add_f64 v[74:75], v[92:93], v[74:75]
	v_add_f64 v[70:71], v[120:121], v[70:71]
	v_mul_f64 v[173:174], v[106:107], s[18:19]
	v_mul_f64 v[175:176], v[118:119], s[18:19]
	v_add_f64 v[30:31], v[177:178], v[151:152]
	v_add_f64 v[34:35], v[159:160], v[155:156]
	;; [unrolled: 1-line block ×3, first 2 shown]
	v_fma_f64 v[151:152], v[64:65], s[22:23], v[157:158]
	v_mul_f64 v[153:154], v[66:67], s[20:21]
	v_fma_f64 v[155:156], v[60:61], s[0:1], v[185:186]
	v_add_f64 v[145:146], v[145:146], v[187:188]
	v_add_f64 v[137:138], v[141:142], v[137:138]
	v_mul_f64 v[141:142], v[68:69], s[34:35]
	v_add_f64 v[32:33], v[161:162], v[167:168]
	v_fma_f64 v[157:158], v[36:37], s[14:15], -v[169:170]
	v_add_f64 v[167:168], v[201:202], v[179:180]
	v_fma_f64 v[177:178], v[64:65], s[12:13], -v[191:192]
	v_add_f64 v[179:180], v[205:206], v[195:196]
	v_mul_f64 v[187:188], v[112:113], s[40:41]
	v_fma_f64 v[199:200], v[82:83], s[12:13], -v[165:166]
	v_mul_f64 v[159:160], v[108:109], s[34:35]
	v_fma_f64 v[161:162], v[48:49], s[12:13], v[189:190]
	v_mul_f64 v[169:170], v[110:111], s[34:35]
	v_add_f64 v[92:93], v[139:140], v[181:182]
	v_fma_f64 v[139:140], v[64:65], s[12:13], v[191:192]
	v_add_f64 v[143:144], v[143:144], v[183:184]
	v_add_f64 v[74:75], v[74:75], v[88:89]
	;; [unrolled: 1-line block ×3, first 2 shown]
	v_fma_f64 v[203:204], v[78:79], s[4:5], v[173:174]
	v_add_f64 v[147:148], v[197:198], v[147:148]
	v_fma_f64 v[193:194], v[96:97], s[14:15], v[153:154]
	v_add_f64 v[155:156], v[102:103], v[155:156]
	v_add_f64 v[145:146], v[151:152], v[145:146]
	v_fma_f64 v[151:152], v[80:81], s[12:13], -v[163:164]
	v_mul_f64 v[163:164], v[62:63], s[20:21]
	v_fma_f64 v[195:196], v[56:57], s[0:1], -v[141:142]
	v_add_f64 v[120:121], v[157:158], v[137:138]
	v_fma_f64 v[137:138], v[60:61], s[0:1], -v[185:186]
	v_fma_f64 v[157:158], v[82:83], s[12:13], v[165:166]
	v_add_f64 v[177:178], v[177:178], v[179:180]
	v_fma_f64 v[179:180], v[48:49], s[12:13], -v[189:190]
	v_mul_f64 v[165:166], v[108:109], s[26:27]
	v_fma_f64 v[181:182], v[48:49], s[4:5], v[187:188]
	v_add_f64 v[149:150], v[199:200], v[149:150]
	v_mul_f64 v[197:198], v[86:87], s[36:37]
	v_fma_f64 v[199:200], v[36:37], s[0:1], v[159:160]
	v_add_f64 v[161:162], v[161:162], v[167:168]
	v_fma_f64 v[201:202], v[40:41], s[0:1], -v[169:170]
	v_fma_f64 v[159:160], v[36:37], s[0:1], -v[159:160]
	v_add_f64 v[139:140], v[139:140], v[143:144]
	v_fma_f64 v[143:144], v[78:79], s[4:5], -v[173:174]
	v_add_f64 v[74:75], v[74:75], v[135:136]
	v_add_f64 v[70:71], v[70:71], v[133:134]
	;; [unrolled: 1-line block ×4, first 2 shown]
	v_mul_f64 v[171:172], v[114:115], s[40:41]
	v_fma_f64 v[183:184], v[90:91], s[14:15], -v[163:164]
	v_add_f64 v[185:186], v[100:101], v[195:196]
	v_add_f64 v[120:121], v[151:152], v[120:121]
	;; [unrolled: 1-line block ×3, first 2 shown]
	v_fma_f64 v[137:138], v[40:41], s[0:1], v[169:170]
	v_mul_f64 v[151:152], v[110:111], s[26:27]
	v_add_f64 v[88:89], v[179:180], v[92:93]
	v_fma_f64 v[92:93], v[96:97], s[14:15], -v[153:154]
	v_fma_f64 v[169:170], v[36:37], s[12:13], v[165:166]
	v_fma_f64 v[133:134], v[48:49], s[4:5], -v[187:188]
	v_mul_f64 v[187:188], v[118:119], s[26:27]
	v_mul_f64 v[167:168], v[104:105], s[36:37]
	v_fma_f64 v[191:192], v[80:81], s[14:15], v[197:198]
	v_add_f64 v[161:162], v[199:200], v[161:162]
	v_mul_f64 v[193:194], v[118:119], s[28:29]
	v_add_f64 v[177:178], v[201:202], v[177:178]
	v_fma_f64 v[165:166], v[36:37], s[12:13], -v[165:166]
	v_add_f64 v[74:75], v[74:75], v[131:132]
	v_add_f64 v[70:71], v[70:71], v[126:127]
	;; [unrolled: 1-line block ×3, first 2 shown]
	v_mul_f64 v[153:154], v[86:87], s[30:31]
	v_fma_f64 v[173:174], v[64:65], s[4:5], -v[171:172]
	v_mul_f64 v[189:190], v[106:107], s[28:29]
	v_add_f64 v[179:180], v[183:184], v[185:186]
	v_mul_f64 v[185:186], v[106:107], s[26:27]
	s_mov_b32 s27, 0xbfddbe06
	v_fma_f64 v[183:184], v[80:81], s[14:15], -v[197:198]
	v_add_f64 v[135:136], v[137:138], v[139:140]
	v_add_f64 v[88:89], v[159:160], v[88:89]
	v_add_f64 v[92:93], v[92:93], v[94:95]
	v_fma_f64 v[139:140], v[56:57], s[0:1], v[141:142]
	v_mul_f64 v[126:127], v[68:69], s[26:27]
	v_mul_f64 v[68:69], v[68:69], s[30:31]
	v_fma_f64 v[195:196], v[82:83], s[14:15], -v[167:168]
	v_fma_f64 v[94:95], v[82:83], s[14:15], v[167:168]
	v_add_f64 v[161:162], v[191:192], v[161:162]
	v_fma_f64 v[181:182], v[76:77], s[22:23], -v[193:194]
	v_fma_f64 v[131:132], v[76:77], s[22:23], v[193:194]
	v_mul_f64 v[193:194], v[62:63], s[18:19]
	v_mul_f64 v[62:63], v[62:63], s[30:31]
	v_add_f64 v[74:75], v[74:75], v[129:130]
	v_add_f64 v[155:156], v[169:170], v[155:156]
	v_fma_f64 v[169:170], v[40:41], s[12:13], -v[151:152]
	v_add_f64 v[70:71], v[70:71], v[122:123]
	v_mul_f64 v[167:168], v[104:105], s[30:31]
	v_add_f64 v[173:174], v[173:174], v[179:180]
	v_mul_f64 v[179:180], v[58:59], s[30:31]
	v_mul_f64 v[58:59], v[58:59], s[26:27]
	;; [unrolled: 1-line block ×3, first 2 shown]
	v_fma_f64 v[171:172], v[64:65], s[4:5], v[171:172]
	v_add_f64 v[88:89], v[183:184], v[88:89]
	v_add_f64 v[92:93], v[133:134], v[92:93]
	v_fma_f64 v[133:134], v[90:91], s[14:15], v[163:164]
	v_add_f64 v[139:140], v[100:101], v[139:140]
	v_mul_f64 v[183:184], v[66:67], s[18:19]
	v_mul_f64 v[66:67], v[66:67], s[30:31]
	v_fma_f64 v[122:123], v[56:57], s[12:13], v[126:127]
	v_add_f64 v[177:178], v[195:196], v[177:178]
	v_fma_f64 v[129:130], v[56:57], s[22:23], v[68:69]
	v_fma_f64 v[68:69], v[56:57], s[22:23], -v[68:69]
	v_fma_f64 v[56:57], v[56:57], s[12:13], -v[126:127]
	v_fma_f64 v[197:198], v[90:91], s[22:23], v[62:63]
	v_add_f64 v[74:75], v[74:75], v[124:125]
	v_mul_f64 v[124:125], v[108:109], s[38:39]
	v_fma_f64 v[62:63], v[90:91], s[22:23], -v[62:63]
	v_add_f64 v[70:71], v[70:71], v[116:117]
	v_fma_f64 v[151:152], v[40:41], s[12:13], v[151:152]
	v_add_f64 v[169:170], v[169:170], v[173:174]
	v_fma_f64 v[191:192], v[60:61], s[22:23], -v[179:180]
	v_fma_f64 v[173:174], v[60:61], s[12:13], -v[58:59]
	v_fma_f64 v[58:59], v[60:61], s[12:13], v[58:59]
	v_fma_f64 v[141:142], v[80:81], s[22:23], v[153:154]
	v_fma_f64 v[153:154], v[80:81], s[22:23], -v[153:154]
	v_add_f64 v[92:93], v[165:166], v[92:93]
	v_fma_f64 v[165:166], v[60:61], s[22:23], v[179:180]
	v_add_f64 v[133:134], v[133:134], v[139:140]
	v_mul_f64 v[139:140], v[112:113], s[20:21]
	v_mul_f64 v[60:61], v[114:115], s[20:21]
	v_fma_f64 v[126:127], v[96:97], s[4:5], -v[183:184]
	v_mul_f64 v[112:113], v[112:113], s[34:35]
	v_mul_f64 v[114:115], v[114:115], s[34:35]
	v_fma_f64 v[195:196], v[96:97], s[22:23], -v[66:67]
	v_add_f64 v[116:117], v[100:101], v[122:123]
	v_add_f64 v[122:123], v[100:101], v[129:130]
	v_fma_f64 v[129:130], v[96:97], s[4:5], v[183:184]
	v_mul_f64 v[183:184], v[110:111], s[38:39]
	v_add_f64 v[68:69], v[100:101], v[68:69]
	v_fma_f64 v[66:67], v[96:97], s[22:23], v[66:67]
	v_add_f64 v[56:57], v[100:101], v[56:57]
	v_add_f64 v[74:75], v[74:75], v[98:99]
	;; [unrolled: 1-line block ×4, first 2 shown]
	v_fma_f64 v[191:192], v[90:91], s[4:5], v[193:194]
	v_fma_f64 v[193:194], v[90:91], s[4:5], -v[193:194]
	v_add_f64 v[58:59], v[102:103], v[58:59]
	v_add_f64 v[70:71], v[70:71], v[84:85]
	;; [unrolled: 1-line block ×3, first 2 shown]
	v_mul_f64 v[102:103], v[108:109], s[18:19]
	v_fma_f64 v[90:91], v[48:49], s[14:15], -v[139:140]
	v_mul_f64 v[108:109], v[110:111], s[18:19]
	v_fma_f64 v[100:101], v[64:65], s[14:15], v[60:61]
	v_fma_f64 v[110:111], v[48:49], s[0:1], -v[112:113]
	v_fma_f64 v[60:61], v[64:65], s[14:15], -v[60:61]
	v_mul_f64 v[159:160], v[118:119], s[24:25]
	v_add_f64 v[84:85], v[197:198], v[116:117]
	v_mul_f64 v[116:117], v[86:87], s[6:7]
	v_mul_f64 v[86:87], v[86:87], s[24:25]
	v_fma_f64 v[163:164], v[82:83], s[22:23], -v[167:168]
	v_add_f64 v[145:146], v[157:158], v[145:146]
	v_fma_f64 v[157:158], v[78:79], s[22:23], v[189:190]
	v_add_f64 v[56:57], v[62:63], v[56:57]
	v_fma_f64 v[62:63], v[36:37], s[16:17], -v[124:125]
	v_add_f64 v[96:97], v[126:127], v[179:180]
	v_add_f64 v[126:127], v[195:196], v[173:174]
	v_fma_f64 v[173:174], v[64:65], s[0:1], v[114:115]
	v_add_f64 v[98:99], v[191:192], v[122:123]
	v_fma_f64 v[122:123], v[48:49], s[14:15], v[139:140]
	v_mul_f64 v[139:140], v[104:105], s[6:7]
	v_add_f64 v[68:69], v[193:194], v[68:69]
	v_fma_f64 v[48:49], v[48:49], s[0:1], v[112:113]
	v_add_f64 v[58:59], v[66:67], v[58:59]
	v_fma_f64 v[112:113], v[40:41], s[4:5], v[108:109]
	v_add_f64 v[44:45], v[74:75], v[44:45]
	v_add_f64 v[70:71], v[70:71], v[72:73]
	v_fma_f64 v[64:65], v[64:65], s[0:1], -v[114:115]
	v_add_f64 v[129:130], v[129:130], v[165:166]
	v_fma_f64 v[189:190], v[78:79], s[22:23], -v[189:190]
	;; [unrolled: 2-line block ×3, first 2 shown]
	v_fma_f64 v[175:176], v[76:77], s[4:5], v[175:176]
	v_fma_f64 v[135:136], v[78:79], s[16:17], v[137:138]
	v_add_f64 v[141:142], v[141:142], v[155:156]
	v_fma_f64 v[155:156], v[76:77], s[16:17], -v[159:160]
	v_add_f64 v[66:67], v[90:91], v[96:97]
	v_mul_f64 v[96:97], v[104:105], s[24:25]
	v_fma_f64 v[104:105], v[36:37], s[4:5], -v[102:103]
	v_add_f64 v[110:111], v[110:111], v[126:127]
	v_add_f64 v[72:73], v[173:174], v[84:85]
	v_fma_f64 v[90:91], v[40:41], s[16:17], v[183:184]
	v_add_f64 v[74:75], v[100:101], v[98:99]
	v_fma_f64 v[100:101], v[36:37], s[16:17], v[124:125]
	;; [unrolled: 2-line block ×3, first 2 shown]
	v_add_f64 v[48:49], v[48:49], v[58:59]
	v_fma_f64 v[58:59], v[80:81], s[0:1], -v[116:117]
	v_mul_f64 v[68:69], v[118:119], s[20:21]
	v_fma_f64 v[102:103], v[80:81], s[16:17], -v[86:87]
	v_add_f64 v[44:45], v[44:45], v[52:53]
	v_add_f64 v[56:57], v[64:65], v[56:57]
	v_fma_f64 v[64:65], v[82:83], s[0:1], v[139:140]
	v_add_f64 v[46:47], v[70:71], v[46:47]
	v_add_f64 v[114:115], v[122:123], v[129:130]
	v_fma_f64 v[122:123], v[40:41], s[16:17], -v[183:184]
	v_fma_f64 v[40:41], v[40:41], s[4:5], -v[108:109]
	v_add_f64 v[84:85], v[171:172], v[133:134]
	v_add_f64 v[62:63], v[62:63], v[66:67]
	v_mul_f64 v[66:67], v[106:107], s[20:21]
	v_fma_f64 v[106:107], v[82:83], s[16:17], v[96:97]
	v_add_f64 v[104:105], v[104:105], v[110:111]
	v_add_f64 v[52:53], v[112:113], v[72:73]
	v_fma_f64 v[98:99], v[82:83], s[22:23], v[167:168]
	v_add_f64 v[70:71], v[90:91], v[74:75]
	v_fma_f64 v[74:75], v[78:79], s[16:17], -v[137:138]
	v_add_f64 v[36:37], v[36:37], v[48:49]
	v_fma_f64 v[48:49], v[82:83], s[16:17], -v[96:97]
	v_fma_f64 v[110:111], v[76:77], s[14:15], -v[68:69]
	v_add_f64 v[108:109], v[46:47], v[42:43]
	v_add_f64 v[42:43], v[203:204], v[147:148]
	buffer_load_dword v203, off, s[44:47], 0 ; 4-byte Folded Reload
	v_add_f64 v[90:91], v[100:101], v[114:115]
	v_add_f64 v[72:73], v[151:152], v[84:85]
	;; [unrolled: 1-line block ×3, first 2 shown]
	v_fma_f64 v[62:63], v[78:79], s[14:15], -v[66:67]
	v_fma_f64 v[84:85], v[80:81], s[0:1], v[116:117]
	v_add_f64 v[96:97], v[102:103], v[104:105]
	v_fma_f64 v[102:103], v[76:77], s[14:15], v[68:69]
	v_add_f64 v[52:53], v[106:107], v[52:53]
	v_add_f64 v[70:71], v[64:65], v[70:71]
	v_fma_f64 v[100:101], v[82:83], s[0:1], -v[139:140]
	v_add_f64 v[60:61], v[122:123], v[60:61]
	v_fma_f64 v[80:81], v[80:81], s[16:17], v[86:87]
	v_add_f64 v[40:41], v[40:41], v[56:57]
	v_add_f64 v[104:105], v[44:45], v[50:51]
	;; [unrolled: 1-line block ×3, first 2 shown]
	v_fma_f64 v[86:87], v[78:79], s[12:13], -v[185:186]
	v_fma_f64 v[92:93], v[76:77], s[12:13], v[187:188]
	v_fma_f64 v[82:83], v[76:77], s[16:17], v[159:160]
	;; [unrolled: 1-line block ×4, first 2 shown]
	v_add_f64 v[66:67], v[108:109], v[38:39]
	v_add_f64 v[50:51], v[189:190], v[88:89]
	;; [unrolled: 1-line block ×8, first 2 shown]
	v_fma_f64 v[90:91], v[76:77], s[12:13], -v[187:188]
	v_add_f64 v[62:63], v[102:103], v[52:53]
	buffer_load_dword v52, off, s[44:47], 0 offset:4 ; 4-byte Folded Reload
	v_add_f64 v[38:39], v[157:158], v[161:162]
	v_add_f64 v[100:101], v[100:101], v[60:61]
	;; [unrolled: 1-line block ×18, first 2 shown]
	s_waitcnt vmcnt(0)
	v_lshl_add_u32 v52, v203, 4, v52
	ds_write_b128 v255, v[66:69]
	ds_write_b128 v52, v[62:65] offset:112
	ds_write_b128 v52, v[58:61] offset:224
	;; [unrolled: 1-line block ×12, first 2 shown]
.LBB0_9:
	s_or_b32 exec_lo, exec_lo, s33
	s_waitcnt lgkmcnt(0)
	s_barrier
	buffer_gl0_inv
	ds_read_b128 v[28:31], v255
	ds_read_b128 v[32:35], v255 offset:208
	ds_read_b128 v[36:39], v255 offset:416
	;; [unrolled: 1-line block ×6, first 2 shown]
	v_mad_u64_u32 v[56:57], null, s10, v128, 0
	v_mad_u64_u32 v[58:59], null, s8, v203, 0
	s_mov_b32 s0, 0x16816817
	s_mov_b32 s1, 0x3f868168
	s_mul_i32 s4, s9, 0xd0
	v_mad_u64_u32 v[64:65], null, s11, v128, v[57:58]
	s_waitcnt lgkmcnt(6)
	v_mul_f64 v[60:61], v[2:3], v[30:31]
	v_mul_f64 v[2:3], v[2:3], v[28:29]
	s_waitcnt lgkmcnt(5)
	v_mul_f64 v[62:63], v[6:7], v[34:35]
	v_mul_f64 v[6:7], v[6:7], v[32:33]
	;; [unrolled: 3-line block ×6, first 2 shown]
	v_mov_b32_e32 v57, v64
	v_lshlrev_b64 v[56:57], 4, v[56:57]
	v_mad_u64_u32 v[65:66], null, s9, v203, v[59:60]
	v_mul_f64 v[66:67], v[10:11], v[38:39]
	v_mul_f64 v[10:11], v[10:11], v[36:37]
	v_fma_f64 v[28:29], v[0:1], v[28:29], v[60:61]
	v_fma_f64 v[2:3], v[0:1], v[30:31], -v[2:3]
	v_fma_f64 v[30:31], v[4:5], v[32:33], v[62:63]
	v_fma_f64 v[6:7], v[4:5], v[34:35], -v[6:7]
	v_mov_b32_e32 v59, v65
	v_add_co_u32 v4, vcc_lo, s2, v56
	v_add_co_ci_u32_e32 v5, vcc_lo, s3, v57, vcc_lo
	v_lshlrev_b64 v[0:1], 4, v[58:59]
	v_fma_f64 v[14:15], v[12:13], v[42:43], -v[14:15]
	v_fma_f64 v[42:43], v[20:21], v[52:53], v[74:75]
	s_mul_hi_u32 s2, s8, 0xd0
	s_mul_i32 s3, s8, 0xd0
	s_add_i32 s2, s2, s4
	v_add_co_u32 v34, vcc_lo, v4, v0
	v_add_co_ci_u32_e32 v35, vcc_lo, v5, v1, vcc_lo
	v_fma_f64 v[32:33], v[8:9], v[36:37], v[66:67]
	v_fma_f64 v[10:11], v[8:9], v[38:39], -v[10:11]
	v_fma_f64 v[36:37], v[12:13], v[40:41], v[68:69]
	v_fma_f64 v[38:39], v[24:25], v[44:45], v[70:71]
	v_fma_f64 v[24:25], v[24:25], v[46:47], -v[26:27]
	v_fma_f64 v[26:27], v[16:17], v[48:49], v[72:73]
	v_fma_f64 v[40:41], v[16:17], v[50:51], -v[18:19]
	v_mul_f64 v[0:1], v[28:29], s[0:1]
	v_fma_f64 v[28:29], v[20:21], v[54:55], -v[22:23]
	v_mul_f64 v[2:3], v[2:3], s[0:1]
	v_mul_f64 v[4:5], v[30:31], s[0:1]
	v_add_co_u32 v30, vcc_lo, v34, s3
	v_add_co_ci_u32_e32 v31, vcc_lo, s2, v35, vcc_lo
	v_mul_f64 v[6:7], v[6:7], s[0:1]
	v_mul_f64 v[14:15], v[14:15], s[0:1]
	;; [unrolled: 1-line block ×3, first 2 shown]
	v_add_co_u32 v32, vcc_lo, v30, s3
	v_mul_f64 v[10:11], v[10:11], s[0:1]
	v_add_co_ci_u32_e32 v33, vcc_lo, s2, v31, vcc_lo
	v_mul_f64 v[12:13], v[36:37], s[0:1]
	v_mul_f64 v[16:17], v[38:39], s[0:1]
	;; [unrolled: 1-line block ×7, first 2 shown]
	v_add_co_u32 v28, vcc_lo, v32, s3
	v_add_co_ci_u32_e32 v29, vcc_lo, s2, v33, vcc_lo
	global_store_dwordx4 v[34:35], v[0:3], off
	v_add_co_u32 v36, vcc_lo, v28, s3
	v_add_co_ci_u32_e32 v37, vcc_lo, s2, v29, vcc_lo
	global_store_dwordx4 v[30:31], v[4:7], off
	v_add_co_u32 v0, vcc_lo, v36, s3
	v_add_co_ci_u32_e32 v1, vcc_lo, s2, v37, vcc_lo
	v_add_co_u32 v2, vcc_lo, v0, s3
	v_add_co_ci_u32_e32 v3, vcc_lo, s2, v1, vcc_lo
	global_store_dwordx4 v[32:33], v[8:11], off
	global_store_dwordx4 v[28:29], v[12:15], off
	;; [unrolled: 1-line block ×5, first 2 shown]
.LBB0_10:
	s_endpgm
	.section	.rodata,"a",@progbits
	.p2align	6, 0x0
	.amdhsa_kernel bluestein_single_fwd_len91_dim1_dp_op_CI_CI
		.amdhsa_group_segment_fixed_size 27664
		.amdhsa_private_segment_fixed_size 316
		.amdhsa_kernarg_size 104
		.amdhsa_user_sgpr_count 6
		.amdhsa_user_sgpr_private_segment_buffer 1
		.amdhsa_user_sgpr_dispatch_ptr 0
		.amdhsa_user_sgpr_queue_ptr 0
		.amdhsa_user_sgpr_kernarg_segment_ptr 1
		.amdhsa_user_sgpr_dispatch_id 0
		.amdhsa_user_sgpr_flat_scratch_init 0
		.amdhsa_user_sgpr_private_segment_size 0
		.amdhsa_wavefront_size32 1
		.amdhsa_uses_dynamic_stack 0
		.amdhsa_system_sgpr_private_segment_wavefront_offset 1
		.amdhsa_system_sgpr_workgroup_id_x 1
		.amdhsa_system_sgpr_workgroup_id_y 0
		.amdhsa_system_sgpr_workgroup_id_z 0
		.amdhsa_system_sgpr_workgroup_info 0
		.amdhsa_system_vgpr_workitem_id 0
		.amdhsa_next_free_vgpr 256
		.amdhsa_next_free_sgpr 48
		.amdhsa_reserve_vcc 1
		.amdhsa_reserve_flat_scratch 0
		.amdhsa_float_round_mode_32 0
		.amdhsa_float_round_mode_16_64 0
		.amdhsa_float_denorm_mode_32 3
		.amdhsa_float_denorm_mode_16_64 3
		.amdhsa_dx10_clamp 1
		.amdhsa_ieee_mode 1
		.amdhsa_fp16_overflow 0
		.amdhsa_workgroup_processor_mode 1
		.amdhsa_memory_ordered 1
		.amdhsa_forward_progress 0
		.amdhsa_shared_vgpr_count 0
		.amdhsa_exception_fp_ieee_invalid_op 0
		.amdhsa_exception_fp_denorm_src 0
		.amdhsa_exception_fp_ieee_div_zero 0
		.amdhsa_exception_fp_ieee_overflow 0
		.amdhsa_exception_fp_ieee_underflow 0
		.amdhsa_exception_fp_ieee_inexact 0
		.amdhsa_exception_int_div_zero 0
	.end_amdhsa_kernel
	.text
.Lfunc_end0:
	.size	bluestein_single_fwd_len91_dim1_dp_op_CI_CI, .Lfunc_end0-bluestein_single_fwd_len91_dim1_dp_op_CI_CI
                                        ; -- End function
	.section	.AMDGPU.csdata,"",@progbits
; Kernel info:
; codeLenInByte = 14496
; NumSgprs: 50
; NumVgprs: 256
; ScratchSize: 316
; MemoryBound: 0
; FloatMode: 240
; IeeeMode: 1
; LDSByteSize: 27664 bytes/workgroup (compile time only)
; SGPRBlocks: 6
; VGPRBlocks: 31
; NumSGPRsForWavesPerEU: 50
; NumVGPRsForWavesPerEU: 256
; Occupancy: 4
; WaveLimiterHint : 1
; COMPUTE_PGM_RSRC2:SCRATCH_EN: 1
; COMPUTE_PGM_RSRC2:USER_SGPR: 6
; COMPUTE_PGM_RSRC2:TRAP_HANDLER: 0
; COMPUTE_PGM_RSRC2:TGID_X_EN: 1
; COMPUTE_PGM_RSRC2:TGID_Y_EN: 0
; COMPUTE_PGM_RSRC2:TGID_Z_EN: 0
; COMPUTE_PGM_RSRC2:TIDIG_COMP_CNT: 0
	.text
	.p2alignl 6, 3214868480
	.fill 48, 4, 3214868480
	.type	__hip_cuid_85f1a88cea692464,@object ; @__hip_cuid_85f1a88cea692464
	.section	.bss,"aw",@nobits
	.globl	__hip_cuid_85f1a88cea692464
__hip_cuid_85f1a88cea692464:
	.byte	0                               ; 0x0
	.size	__hip_cuid_85f1a88cea692464, 1

	.ident	"AMD clang version 19.0.0git (https://github.com/RadeonOpenCompute/llvm-project roc-6.4.0 25133 c7fe45cf4b819c5991fe208aaa96edf142730f1d)"
	.section	".note.GNU-stack","",@progbits
	.addrsig
	.addrsig_sym __hip_cuid_85f1a88cea692464
	.amdgpu_metadata
---
amdhsa.kernels:
  - .args:
      - .actual_access:  read_only
        .address_space:  global
        .offset:         0
        .size:           8
        .value_kind:     global_buffer
      - .actual_access:  read_only
        .address_space:  global
        .offset:         8
        .size:           8
        .value_kind:     global_buffer
      - .actual_access:  read_only
        .address_space:  global
        .offset:         16
        .size:           8
        .value_kind:     global_buffer
      - .actual_access:  read_only
        .address_space:  global
        .offset:         24
        .size:           8
        .value_kind:     global_buffer
      - .actual_access:  read_only
        .address_space:  global
        .offset:         32
        .size:           8
        .value_kind:     global_buffer
      - .offset:         40
        .size:           8
        .value_kind:     by_value
      - .address_space:  global
        .offset:         48
        .size:           8
        .value_kind:     global_buffer
      - .address_space:  global
        .offset:         56
        .size:           8
        .value_kind:     global_buffer
      - .address_space:  global
        .offset:         64
        .size:           8
        .value_kind:     global_buffer
      - .address_space:  global
        .offset:         72
        .size:           8
        .value_kind:     global_buffer
      - .offset:         80
        .size:           4
        .value_kind:     by_value
      - .address_space:  global
        .offset:         88
        .size:           8
        .value_kind:     global_buffer
      - .address_space:  global
        .offset:         96
        .size:           8
        .value_kind:     global_buffer
    .group_segment_fixed_size: 27664
    .kernarg_segment_align: 8
    .kernarg_segment_size: 104
    .language:       OpenCL C
    .language_version:
      - 2
      - 0
    .max_flat_workgroup_size: 247
    .name:           bluestein_single_fwd_len91_dim1_dp_op_CI_CI
    .private_segment_fixed_size: 316
    .sgpr_count:     50
    .sgpr_spill_count: 0
    .symbol:         bluestein_single_fwd_len91_dim1_dp_op_CI_CI.kd
    .uniform_work_group_size: 1
    .uses_dynamic_stack: false
    .vgpr_count:     256
    .vgpr_spill_count: 78
    .wavefront_size: 32
    .workgroup_processor_mode: 1
amdhsa.target:   amdgcn-amd-amdhsa--gfx1030
amdhsa.version:
  - 1
  - 2
...

	.end_amdgpu_metadata
